;; amdgpu-corpus repo=ROCm/rocFFT kind=compiled arch=gfx950 opt=O3
	.text
	.amdgcn_target "amdgcn-amd-amdhsa--gfx950"
	.amdhsa_code_object_version 6
	.protected	bluestein_single_back_len85_dim1_dp_op_CI_CI ; -- Begin function bluestein_single_back_len85_dim1_dp_op_CI_CI
	.globl	bluestein_single_back_len85_dim1_dp_op_CI_CI
	.p2align	8
	.type	bluestein_single_back_len85_dim1_dp_op_CI_CI,@function
bluestein_single_back_len85_dim1_dp_op_CI_CI: ; @bluestein_single_back_len85_dim1_dp_op_CI_CI
; %bb.0:
	s_load_dwordx4 s[8:11], s[0:1], 0x28
	v_mul_u32_u24_e32 v1, 0xf10, v0
	v_lshrrev_b32_e32 v2, 16, v1
	v_mad_u64_u32 v[136:137], s[2:3], s2, 15, v[2:3]
	v_mov_b32_e32 v137, 0
	s_waitcnt lgkmcnt(0)
	v_cmp_gt_u64_e32 vcc, s[8:9], v[136:137]
	s_and_saveexec_b64 s[2:3], vcc
	s_cbranch_execz .LBB0_15
; %bb.1:
	v_mul_lo_u16_e32 v1, 17, v2
	s_mov_b32 s2, 0x88888889
	v_sub_u16_e32 v137, v0, v1
	v_mul_hi_u32 v0, v136, s2
	v_lshrrev_b32_e32 v0, 3, v0
	v_mul_lo_u32 v0, v0, 15
	s_load_dwordx2 s[8:9], s[0:1], 0x0
	s_load_dwordx2 s[12:13], s[0:1], 0x38
	v_sub_u32_e32 v0, v136, v0
	v_mul_u32_u24_e32 v0, 0x55, v0
	v_accvgpr_write_b32 a1, v0
	v_lshlrev_b32_e32 v0, 4, v0
	v_accvgpr_write_b32 a2, v0
	v_or_b32_e32 v0, 40, v137
	v_cmp_gt_u16_e32 vcc, 5, v137
	v_lshlrev_b32_e32 v202, 4, v137
	v_accvgpr_write_b32 a0, v0
	s_and_saveexec_b64 s[2:3], vcc
	s_cbranch_execz .LBB0_3
; %bb.2:
	s_load_dwordx2 s[4:5], s[0:1], 0x18
	v_mov_b32_e32 v0, s10
	v_mov_b32_e32 v1, s11
	;; [unrolled: 1-line block ×3, first 2 shown]
	v_accvgpr_read_b32 v87, a0
	s_waitcnt lgkmcnt(0)
	s_load_dwordx4 s[4:7], s[4:5], 0x0
	v_mov_b32_e32 v57, 0xa0
	s_waitcnt lgkmcnt(0)
	v_mad_u64_u32 v[2:3], s[10:11], s6, v136, 0
	v_mad_u64_u32 v[4:5], s[10:11], s4, v137, 0
	v_mov_b32_e32 v6, v3
	v_mov_b32_e32 v8, v5
	v_mad_u64_u32 v[6:7], s[6:7], s7, v136, v[6:7]
	v_mov_b32_e32 v3, v6
	v_mad_u64_u32 v[6:7], s[6:7], s5, v137, v[8:9]
	v_mov_b32_e32 v5, v6
	v_lshl_add_u64 v[52:53], v[2:3], 4, v[0:1]
	v_lshl_add_u64 v[54:55], v[4:5], 4, v[52:53]
	global_load_dwordx4 v[0:3], v[54:55], off
	global_load_dwordx4 v[4:7], v202, s[8:9]
	s_mul_i32 s10, s5, 0x50
	v_mad_u64_u32 v[54:55], s[6:7], s4, v56, v[54:55]
	v_add_u32_e32 v55, s10, v55
	v_mad_u64_u32 v[94:95], s[6:7], s4, v87, 0
	global_load_dwordx4 v[8:11], v202, s[8:9] offset:80
	global_load_dwordx4 v[12:15], v202, s[8:9] offset:160
	;; [unrolled: 1-line block ×11, first 2 shown]
	global_load_dwordx4 v[58:61], v[54:55], off
	v_mad_u64_u32 v[54:55], s[6:7], s4, v56, v[54:55]
	v_mov_b32_e32 v86, v95
	v_add_u32_e32 v55, s10, v55
	v_mad_u64_u32 v[90:91], s[6:7], s5, v87, v[86:87]
	global_load_dwordx4 v[62:65], v[54:55], off
	global_load_dwordx4 v[66:69], v202, s[8:9] offset:960
	global_load_dwordx4 v[70:73], v202, s[8:9] offset:1040
	v_mad_u64_u32 v[54:55], s[6:7], s4, v56, v[54:55]
	v_mov_b32_e32 v95, v90
	v_add_u32_e32 v55, s10, v55
	v_lshl_add_u64 v[94:95], v[94:95], 4, v[52:53]
	global_load_dwordx4 v[74:77], v[54:55], off
	s_mul_i32 s11, s5, 0xa0
	global_load_dwordx4 v[94:97], v[94:95], off
	v_mad_u64_u32 v[54:55], s[6:7], s4, v56, v[54:55]
	v_add_u32_e32 v55, s10, v55
	global_load_dwordx4 v[78:81], v[54:55], off
	v_mad_u64_u32 v[54:55], s[6:7], s4, v56, v[54:55]
	v_add_u32_e32 v55, s10, v55
	;; [unrolled: 3-line block ×10, first 2 shown]
	global_load_dwordx4 v[122:125], v[54:55], off
	s_waitcnt vmcnt(27)
	v_mul_f64 v[120:121], v[0:1], v[6:7]
	v_mul_f64 v[118:119], v[2:3], v[6:7]
	v_fma_f64 v[120:121], v[2:3], v[4:5], -v[120:121]
	v_mad_u64_u32 v[2:3], s[6:7], s4, v56, v[54:55]
	v_add_u32_e32 v3, s10, v3
	v_or_b32_e32 v7, 0x50, v137
	global_load_dwordx4 v[54:57], v[2:3], off
	global_load_dwordx4 v[126:129], v202, s[8:9] offset:1120
	global_load_dwordx4 v[130:133], v202, s[8:9] offset:1200
	v_mad_u64_u32 v[2:3], s[6:7], s4, v7, 0
	v_mov_b32_e32 v6, v3
	v_mad_u64_u32 v[6:7], s[4:5], s5, v7, v[6:7]
	v_mov_b32_e32 v3, v6
	v_lshl_add_u64 v[2:3], v[2:3], 4, v[52:53]
	global_load_dwordx4 v[138:141], v[2:3], off
	global_load_dwordx4 v[142:145], v202, s[8:9] offset:1280
	v_fmac_f64_e32 v[118:119], v[0:1], v[4:5]
	s_waitcnt vmcnt(20)
	v_mul_f64 v[0:1], v[58:59], v[10:11]
	v_fma_f64 v[2:3], v[60:61], v[8:9], -v[0:1]
	v_mul_f64 v[0:1], v[60:61], v[10:11]
	v_fmac_f64_e32 v[0:1], v[58:59], v[8:9]
	v_accvgpr_read_b32 v8, a2
	v_lshl_add_u32 v52, v137, 4, v8
	s_waitcnt vmcnt(19)
	v_mul_f64 v[4:5], v[62:63], v[14:15]
	v_add_u32_e32 v53, v8, v202
	s_waitcnt vmcnt(16)
	v_mul_f64 v[8:9], v[76:77], v[18:19]
	v_mul_f64 v[10:11], v[74:75], v[18:19]
	v_fma_f64 v[6:7], v[64:65], v[12:13], -v[4:5]
	v_mul_f64 v[4:5], v[64:65], v[14:15]
	v_fmac_f64_e32 v[8:9], v[74:75], v[16:17]
	v_fma_f64 v[10:11], v[76:77], v[16:17], -v[10:11]
	v_fmac_f64_e32 v[4:5], v[62:63], v[12:13]
	s_waitcnt vmcnt(13)
	v_mul_f64 v[16:17], v[82:83], v[26:27]
	v_mul_f64 v[12:13], v[80:81], v[22:23]
	;; [unrolled: 1-line block ×3, first 2 shown]
	v_fma_f64 v[18:19], v[84:85], v[24:25], -v[16:17]
	v_mul_f64 v[16:17], v[84:85], v[26:27]
	v_fmac_f64_e32 v[12:13], v[78:79], v[20:21]
	v_fma_f64 v[14:15], v[80:81], v[20:21], -v[14:15]
	ds_write_b128 v52, v[118:121]
	v_fmac_f64_e32 v[16:17], v[82:83], v[24:25]
	ds_write_b128 v53, v[0:3] offset:80
	ds_write_b128 v53, v[4:7] offset:160
	;; [unrolled: 1-line block ×5, first 2 shown]
	s_waitcnt vmcnt(12)
	v_mul_f64 v[0:1], v[88:89], v[34:35]
	v_mul_f64 v[2:3], v[86:87], v[34:35]
	v_fmac_f64_e32 v[0:1], v[86:87], v[32:33]
	v_fma_f64 v[2:3], v[88:89], v[32:33], -v[2:3]
	ds_write_b128 v53, v[0:3] offset:480
	s_waitcnt vmcnt(11)
	v_mul_f64 v[0:1], v[92:93], v[30:31]
	v_mul_f64 v[2:3], v[90:91], v[30:31]
	v_fmac_f64_e32 v[0:1], v[90:91], v[28:29]
	v_fma_f64 v[2:3], v[92:93], v[28:29], -v[2:3]
	ds_write_b128 v53, v[0:3] offset:560
	v_mul_f64 v[0:1], v[96:97], v[38:39]
	v_mul_f64 v[2:3], v[94:95], v[38:39]
	v_fmac_f64_e32 v[0:1], v[94:95], v[36:37]
	v_fma_f64 v[2:3], v[96:97], v[36:37], -v[2:3]
	ds_write_b128 v53, v[0:3] offset:640
	s_waitcnt vmcnt(10)
	v_mul_f64 v[0:1], v[100:101], v[42:43]
	v_mul_f64 v[2:3], v[98:99], v[42:43]
	v_fmac_f64_e32 v[0:1], v[98:99], v[40:41]
	v_fma_f64 v[2:3], v[100:101], v[40:41], -v[2:3]
	ds_write_b128 v53, v[0:3] offset:720
	s_waitcnt vmcnt(9)
	;; [unrolled: 6-line block ×3, first 2 shown]
	v_mul_f64 v[0:1], v[106:107], v[50:51]
	v_fma_f64 v[2:3], v[108:109], v[48:49], -v[0:1]
	v_mul_f64 v[0:1], v[108:109], v[50:51]
	v_fmac_f64_e32 v[0:1], v[106:107], v[48:49]
	ds_write_b128 v53, v[0:3] offset:880
	s_waitcnt vmcnt(7)
	v_mul_f64 v[0:1], v[112:113], v[68:69]
	v_mul_f64 v[2:3], v[110:111], v[68:69]
	v_fmac_f64_e32 v[0:1], v[110:111], v[66:67]
	v_fma_f64 v[2:3], v[112:113], v[66:67], -v[2:3]
	ds_write_b128 v53, v[0:3] offset:960
	s_waitcnt vmcnt(6)
	v_mul_f64 v[0:1], v[116:117], v[72:73]
	v_mul_f64 v[2:3], v[114:115], v[72:73]
	v_fmac_f64_e32 v[0:1], v[114:115], v[70:71]
	v_fma_f64 v[2:3], v[116:117], v[70:71], -v[2:3]
	ds_write_b128 v53, v[0:3] offset:1040
	s_waitcnt vmcnt(3)
	v_mul_f64 v[0:1], v[124:125], v[128:129]
	v_mul_f64 v[2:3], v[122:123], v[128:129]
	v_fmac_f64_e32 v[0:1], v[122:123], v[126:127]
	v_fma_f64 v[2:3], v[124:125], v[126:127], -v[2:3]
	ds_write_b128 v53, v[0:3] offset:1120
	s_waitcnt vmcnt(2)
	v_mul_f64 v[0:1], v[56:57], v[132:133]
	v_mul_f64 v[2:3], v[54:55], v[132:133]
	v_fmac_f64_e32 v[0:1], v[54:55], v[130:131]
	v_fma_f64 v[2:3], v[56:57], v[130:131], -v[2:3]
	ds_write_b128 v53, v[0:3] offset:1200
	s_waitcnt vmcnt(0)
	v_mul_f64 v[0:1], v[140:141], v[144:145]
	v_mul_f64 v[2:3], v[138:139], v[144:145]
	v_fmac_f64_e32 v[0:1], v[138:139], v[142:143]
	v_fma_f64 v[2:3], v[140:141], v[142:143], -v[2:3]
	ds_write_b128 v53, v[0:3] offset:1280
.LBB0_3:
	s_or_b64 exec, exec, s[2:3]
	s_load_dwordx2 s[2:3], s[0:1], 0x20
	s_load_dwordx2 s[4:5], s[0:1], 0x8
	s_waitcnt lgkmcnt(0)
	s_barrier
	s_waitcnt lgkmcnt(0)
                                        ; implicit-def: $vgpr50_vgpr51
                                        ; implicit-def: $vgpr42_vgpr43
                                        ; implicit-def: $vgpr38_vgpr39
                                        ; implicit-def: $vgpr34_vgpr35
                                        ; implicit-def: $vgpr30_vgpr31
                                        ; implicit-def: $vgpr26_vgpr27
                                        ; implicit-def: $vgpr22_vgpr23
                                        ; implicit-def: $vgpr18_vgpr19
                                        ; implicit-def: $vgpr14_vgpr15
                                        ; implicit-def: $vgpr52_vgpr53
                                        ; implicit-def: $vgpr56_vgpr57
                                        ; implicit-def: $vgpr60_vgpr61
                                        ; implicit-def: $vgpr68_vgpr69
                                        ; implicit-def: $vgpr72_vgpr73
                                        ; implicit-def: $vgpr76_vgpr77
                                        ; implicit-def: $vgpr80_vgpr81
                                        ; implicit-def: $vgpr84_vgpr85
	s_and_saveexec_b64 s[0:1], vcc
	s_cbranch_execz .LBB0_5
; %bb.4:
	v_accvgpr_read_b32 v0, a1
	v_lshl_add_u32 v0, v0, 4, v202
	ds_read_b128 v[12:15], v0
	ds_read_b128 v[16:19], v0 offset:80
	ds_read_b128 v[20:23], v0 offset:160
	;; [unrolled: 1-line block ×16, first 2 shown]
.LBB0_5:
	s_or_b64 exec, exec, s[0:1]
	s_mov_b32 s38, 0x5d8e7cdc
	s_waitcnt lgkmcnt(0)
	v_add_f64 v[102:103], v[18:19], -v[86:87]
	s_mov_b32 s39, 0xbfd71e95
	s_mov_b32 s46, 0x2a9d6da3
	;; [unrolled: 1-line block ×3, first 2 shown]
	v_mul_f64 v[0:1], v[102:103], s[38:39]
	s_mov_b32 s47, 0xbfe58eea
	v_add_f64 v[118:119], v[22:23], -v[82:83]
	v_add_f64 v[130:131], v[16:17], v[84:85]
	v_add_f64 v[104:105], v[16:17], -v[84:85]
	s_mov_b32 s1, 0x3fedd6d0
	v_accvgpr_write_b32 a5, v1
	s_mov_b32 s16, 0x75d4884
	v_mul_f64 v[120:121], v[118:119], s[46:47]
	v_add_f64 v[132:133], v[18:19], v[86:87]
	v_mul_f64 v[2:3], v[104:105], s[38:39]
	v_accvgpr_write_b32 a4, v0
	v_fma_f64 v[0:1], s[0:1], v[130:131], v[0:1]
	s_mov_b32 s17, 0x3fe7a5f6
	v_add_f64 v[146:147], v[20:21], v[80:81]
	v_add_f64 v[116:117], v[20:21], -v[80:81]
	v_accvgpr_write_b32 a20, v120
	v_add_f64 v[110:111], v[12:13], v[0:1]
	v_accvgpr_write_b32 a7, v3
	v_fma_f64 v[0:1], v[132:133], s[0:1], -v[2:3]
	s_mov_b32 s40, 0xeb564b22
	v_add_f64 v[148:149], v[22:23], v[82:83]
	v_mul_f64 v[122:123], v[116:117], s[46:47]
	v_accvgpr_write_b32 a21, v121
	v_fma_f64 v[120:121], s[16:17], v[146:147], v[120:121]
	v_accvgpr_write_b32 a6, v2
	v_add_f64 v[0:1], v[14:15], v[0:1]
	v_mul_f64 v[2:3], v[102:103], s[46:47]
	s_mov_b32 s41, 0xbfefdd0d
	v_add_f64 v[110:111], v[120:121], v[110:111]
	v_fma_f64 v[120:121], v[148:149], s[16:17], -v[122:123]
	v_mul_f64 v[4:5], v[104:105], s[46:47]
	v_accvgpr_write_b32 a9, v3
	s_mov_b32 s14, 0x3259b75e
	v_add_f64 v[0:1], v[120:121], v[0:1]
	v_mul_f64 v[120:121], v[118:119], s[40:41]
	v_accvgpr_write_b32 a8, v2
	v_fma_f64 v[2:3], s[16:17], v[130:131], v[2:3]
	v_accvgpr_write_b32 a11, v5
	s_mov_b32 s34, 0x7c9e640b
	s_mov_b32 s15, 0x3fb79ee6
	v_accvgpr_write_b32 a22, v122
	v_accvgpr_write_b32 a24, v120
	v_add_f64 v[2:3], v[12:13], v[2:3]
	v_accvgpr_write_b32 a10, v4
	v_fma_f64 v[4:5], v[132:133], s[16:17], -v[4:5]
	s_mov_b32 s35, 0xbfeca52d
	s_mov_b32 s26, 0x6c9a05f6
	v_accvgpr_write_b32 a23, v123
	v_mul_f64 v[122:123], v[116:117], s[40:41]
	v_accvgpr_write_b32 a25, v121
	v_fma_f64 v[120:121], s[14:15], v[146:147], v[120:121]
	v_add_f64 v[4:5], v[14:15], v[4:5]
	s_mov_b32 s6, 0x2b2883cd
	v_mul_f64 v[6:7], v[102:103], s[34:35]
	s_mov_b32 s27, 0xbfe9895b
	v_add_f64 v[2:3], v[120:121], v[2:3]
	v_fma_f64 v[120:121], v[148:149], s[14:15], -v[122:123]
	s_mov_b32 s7, 0x3fdc86fa
	v_mul_f64 v[8:9], v[104:105], s[34:35]
	v_accvgpr_write_b32 a13, v7
	s_mov_b32 s18, 0x6ed5f1bb
	v_add_f64 v[4:5], v[120:121], v[4:5]
	v_mul_f64 v[120:121], v[118:119], s[26:27]
	v_accvgpr_write_b32 a12, v6
	v_fma_f64 v[6:7], s[6:7], v[130:131], v[6:7]
	v_accvgpr_write_b32 a15, v9
	s_mov_b32 s19, 0xbfe348c8
	v_accvgpr_write_b32 a26, v122
	v_accvgpr_write_b32 a28, v120
	v_add_f64 v[6:7], v[12:13], v[6:7]
	v_accvgpr_write_b32 a14, v8
	v_fma_f64 v[8:9], v[132:133], s[6:7], -v[8:9]
	s_mov_b32 s36, 0xacd6c6b4
	v_accvgpr_write_b32 a27, v123
	v_mul_f64 v[122:123], v[116:117], s[26:27]
	v_accvgpr_write_b32 a29, v121
	v_fma_f64 v[120:121], s[18:19], v[146:147], v[120:121]
	v_add_f64 v[8:9], v[14:15], v[8:9]
	v_mul_f64 v[10:11], v[102:103], s[40:41]
	s_mov_b32 s37, 0xbfc7851a
	v_add_f64 v[6:7], v[120:121], v[6:7]
	v_fma_f64 v[120:121], v[148:149], s[18:19], -v[122:123]
	v_accvgpr_write_b32 a17, v11
	s_mov_b32 s22, 0x7faef3
	v_add_f64 v[8:9], v[120:121], v[8:9]
	v_mul_f64 v[120:121], v[118:119], s[36:37]
	v_mul_f64 v[44:45], v[104:105], s[40:41]
	v_accvgpr_write_b32 a16, v10
	v_fma_f64 v[10:11], s[14:15], v[130:131], v[10:11]
	s_mov_b32 s24, 0x923c349f
	s_mov_b32 s23, 0xbfef7484
	v_accvgpr_write_b32 a30, v122
	v_accvgpr_write_b32 a32, v120
	v_add_f64 v[112:113], v[12:13], v[10:11]
	v_fma_f64 v[10:11], v[132:133], s[14:15], -v[44:45]
	s_mov_b32 s25, 0xbfeec746
	s_mov_b32 s10, 0xc61f0d01
	;; [unrolled: 1-line block ×3, first 2 shown]
	v_accvgpr_write_b32 a31, v123
	v_mul_f64 v[122:123], v[116:117], s[36:37]
	v_accvgpr_write_b32 a33, v121
	v_fma_f64 v[120:121], s[22:23], v[146:147], v[120:121]
	v_add_f64 v[114:115], v[14:15], v[10:11]
	v_mul_f64 v[46:47], v[102:103], s[24:25]
	s_mov_b32 s11, 0xbfd183b1
	s_mov_b32 s31, 0xbfe0d888
	;; [unrolled: 1-line block ×3, first 2 shown]
	v_add_f64 v[112:113], v[120:121], v[112:113]
	v_fma_f64 v[120:121], v[148:149], s[22:23], -v[122:123]
	s_mov_b32 s51, 0x3fe0d888
	s_mov_b32 s50, s30
	v_fma_f64 v[10:11], v[130:131], s[10:11], -v[46:47]
	s_mov_b32 s21, 0xbfeb34fa
	v_accvgpr_write_b32 a38, v122
	v_add_f64 v[114:115], v[120:121], v[114:115]
	v_mul_f64 v[120:121], v[118:119], s[50:51]
	v_accvgpr_write_b32 a18, v44
	v_add_f64 v[10:11], v[12:13], v[10:11]
	v_mul_f64 v[64:65], v[104:105], s[24:25]
	v_fmac_f64_e32 v[46:47], s[10:11], v[130:131]
	v_accvgpr_write_b32 a39, v123
	v_fma_f64 v[122:123], v[146:147], s[20:21], -v[120:121]
	v_accvgpr_write_b32 a19, v45
	v_fma_f64 v[44:45], s[10:11], v[132:133], v[64:65]
	v_add_f64 v[46:47], v[12:13], v[46:47]
	v_fma_f64 v[64:65], v[132:133], s[10:11], -v[64:65]
	v_add_f64 v[10:11], v[122:123], v[10:11]
	v_mul_f64 v[122:123], v[116:117], s[50:51]
	v_fmac_f64_e32 v[120:121], s[20:21], v[146:147]
	v_add_f64 v[64:65], v[14:15], v[64:65]
	v_mul_f64 v[90:91], v[102:103], s[26:27]
	v_add_f64 v[46:47], v[120:121], v[46:47]
	v_fma_f64 v[120:121], v[148:149], s[20:21], -v[122:123]
	s_mov_b32 s49, 0x3feec746
	s_mov_b32 s48, s24
	v_fma_f64 v[66:67], v[130:131], s[18:19], -v[90:91]
	v_add_f64 v[64:65], v[120:121], v[64:65]
	v_mul_f64 v[120:121], v[118:119], s[48:49]
	v_add_f64 v[66:67], v[12:13], v[66:67]
	v_mul_f64 v[92:93], v[104:105], s[26:27]
	v_fmac_f64_e32 v[90:91], s[18:19], v[130:131]
	v_fma_f64 v[124:125], s[20:21], v[148:149], v[122:123]
	v_fma_f64 v[122:123], v[146:147], s[10:11], -v[120:121]
	v_fma_f64 v[88:89], s[18:19], v[132:133], v[92:93]
	v_add_f64 v[90:91], v[12:13], v[90:91]
	v_fma_f64 v[92:93], v[132:133], s[18:19], -v[92:93]
	v_add_f64 v[66:67], v[122:123], v[66:67]
	v_mul_f64 v[122:123], v[116:117], s[48:49]
	v_fmac_f64_e32 v[120:121], s[10:11], v[146:147]
	v_add_f64 v[92:93], v[14:15], v[92:93]
	v_mul_f64 v[98:99], v[102:103], s[30:31]
	v_add_f64 v[90:91], v[120:121], v[90:91]
	v_fma_f64 v[120:121], v[148:149], s[10:11], -v[122:123]
	s_mov_b32 s29, 0x3feca52d
	s_mov_b32 s28, s34
	v_add_f64 v[44:45], v[14:15], v[44:45]
	v_fma_f64 v[94:95], v[130:131], s[20:21], -v[98:99]
	v_add_f64 v[92:93], v[120:121], v[92:93]
	v_mul_f64 v[120:121], v[118:119], s[28:29]
	v_add_f64 v[94:95], v[12:13], v[94:95]
	v_mul_f64 v[100:101], v[104:105], s[30:31]
	v_fmac_f64_e32 v[98:99], s[20:21], v[130:131]
	v_add_f64 v[44:45], v[124:125], v[44:45]
	v_fma_f64 v[124:125], s[10:11], v[148:149], v[122:123]
	v_fma_f64 v[122:123], v[146:147], s[6:7], -v[120:121]
	v_fma_f64 v[96:97], s[20:21], v[132:133], v[100:101]
	v_add_f64 v[98:99], v[12:13], v[98:99]
	v_fma_f64 v[100:101], v[132:133], s[20:21], -v[100:101]
	v_mul_f64 v[106:107], v[102:103], s[36:37]
	v_add_f64 v[94:95], v[122:123], v[94:95]
	v_mul_f64 v[122:123], v[116:117], s[28:29]
	v_fmac_f64_e32 v[120:121], s[6:7], v[146:147]
	s_mov_b32 s45, 0x3fd71e95
	s_mov_b32 s44, s38
	v_add_f64 v[100:101], v[14:15], v[100:101]
	v_fma_f64 v[102:103], v[130:131], s[22:23], -v[106:107]
	v_mul_f64 v[108:109], v[104:105], s[36:37]
	v_fmac_f64_e32 v[106:107], s[22:23], v[130:131]
	v_add_f64 v[98:99], v[120:121], v[98:99]
	v_fma_f64 v[120:121], v[148:149], s[6:7], -v[122:123]
	v_mul_f64 v[118:119], v[118:119], s[44:45]
	v_add_f64 v[102:103], v[12:13], v[102:103]
	v_fma_f64 v[104:105], s[22:23], v[132:133], v[108:109]
	v_add_f64 v[106:107], v[12:13], v[106:107]
	v_add_f64 v[100:101], v[120:121], v[100:101]
	v_fma_f64 v[120:121], v[146:147], s[0:1], -v[118:119]
	v_mul_f64 v[116:117], v[116:117], s[44:45]
	v_fmac_f64_e32 v[118:119], s[0:1], v[146:147]
	v_add_f64 v[104:105], v[14:15], v[104:105]
	v_fma_f64 v[108:109], v[132:133], s[22:23], -v[108:109]
	v_add_f64 v[102:103], v[120:121], v[102:103]
	v_fma_f64 v[120:121], s[0:1], v[148:149], v[116:117]
	v_add_f64 v[106:107], v[118:119], v[106:107]
	v_add_f64 v[118:119], v[26:27], -v[78:79]
	v_add_f64 v[108:109], v[14:15], v[108:109]
	v_add_f64 v[104:105], v[120:121], v[104:105]
	v_fma_f64 v[116:117], v[148:149], s[0:1], -v[116:117]
	v_mul_f64 v[120:121], v[118:119], s[34:35]
	v_add_f64 v[88:89], v[14:15], v[88:89]
	v_add_f64 v[108:109], v[116:117], v[108:109]
	;; [unrolled: 1-line block ×3, first 2 shown]
	v_add_f64 v[116:117], v[24:25], -v[76:77]
	v_accvgpr_write_b32 a34, v120
	v_add_f64 v[88:89], v[124:125], v[88:89]
	v_fma_f64 v[124:125], s[6:7], v[148:149], v[122:123]
	v_add_f64 v[168:169], v[26:27], v[78:79]
	v_mul_f64 v[122:123], v[116:117], s[34:35]
	v_accvgpr_write_b32 a35, v121
	v_fma_f64 v[120:121], s[6:7], v[166:167], v[120:121]
	v_add_f64 v[110:111], v[120:121], v[110:111]
	v_fma_f64 v[120:121], v[168:169], s[6:7], -v[122:123]
	v_add_f64 v[0:1], v[120:121], v[0:1]
	v_mul_f64 v[120:121], v[118:119], s[26:27]
	v_accvgpr_write_b32 a36, v122
	v_accvgpr_write_b32 a40, v120
	;; [unrolled: 1-line block ×3, first 2 shown]
	v_mul_f64 v[122:123], v[116:117], s[26:27]
	v_accvgpr_write_b32 a41, v121
	v_fma_f64 v[120:121], s[18:19], v[166:167], v[120:121]
	v_add_f64 v[2:3], v[120:121], v[2:3]
	v_fma_f64 v[120:121], v[168:169], s[18:19], -v[122:123]
	s_mov_b32 s43, 0x3fc7851a
	s_mov_b32 s42, s36
	v_add_f64 v[4:5], v[120:121], v[4:5]
	v_mul_f64 v[120:121], v[118:119], s[42:43]
	v_accvgpr_write_b32 a42, v122
	v_accvgpr_write_b32 a44, v120
	;; [unrolled: 1-line block ×3, first 2 shown]
	v_mul_f64 v[122:123], v[116:117], s[42:43]
	v_accvgpr_write_b32 a45, v121
	v_fma_f64 v[120:121], s[22:23], v[166:167], v[120:121]
	v_add_f64 v[6:7], v[120:121], v[6:7]
	v_fma_f64 v[120:121], v[168:169], s[22:23], -v[122:123]
	v_mul_f64 v[176:177], v[118:119], s[48:49]
	v_add_f64 v[8:9], v[120:121], v[8:9]
	v_mul_f64 v[180:181], v[116:117], s[48:49]
	v_fma_f64 v[120:121], s[10:11], v[166:167], v[176:177]
	v_add_f64 v[112:113], v[120:121], v[112:113]
	v_fma_f64 v[120:121], v[168:169], s[10:11], -v[180:181]
	s_mov_b32 s43, 0x3fe58eea
	s_mov_b32 s42, s46
	v_accvgpr_write_b32 a46, v122
	v_add_f64 v[114:115], v[120:121], v[114:115]
	v_mul_f64 v[120:121], v[118:119], s[42:43]
	v_accvgpr_write_b32 a47, v123
	v_fma_f64 v[122:123], v[166:167], s[16:17], -v[120:121]
	v_add_f64 v[10:11], v[122:123], v[10:11]
	v_mul_f64 v[122:123], v[116:117], s[42:43]
	v_fmac_f64_e32 v[120:121], s[16:17], v[166:167]
	v_add_f64 v[46:47], v[120:121], v[46:47]
	v_fma_f64 v[120:121], v[168:169], s[16:17], -v[122:123]
	v_add_f64 v[96:97], v[14:15], v[96:97]
	v_add_f64 v[64:65], v[120:121], v[64:65]
	v_mul_f64 v[120:121], v[118:119], s[38:39]
	v_add_f64 v[96:97], v[124:125], v[96:97]
	v_fma_f64 v[124:125], s[16:17], v[168:169], v[122:123]
	v_fma_f64 v[122:123], v[166:167], s[0:1], -v[120:121]
	v_add_f64 v[66:67], v[122:123], v[66:67]
	v_mul_f64 v[122:123], v[116:117], s[38:39]
	v_fmac_f64_e32 v[120:121], s[0:1], v[166:167]
	v_add_f64 v[90:91], v[120:121], v[90:91]
	v_fma_f64 v[120:121], v[168:169], s[0:1], -v[122:123]
	v_add_f64 v[92:93], v[120:121], v[92:93]
	v_mul_f64 v[120:121], v[118:119], s[40:41]
	v_add_f64 v[44:45], v[124:125], v[44:45]
	v_fma_f64 v[124:125], s[0:1], v[168:169], v[122:123]
	v_fma_f64 v[122:123], v[166:167], s[14:15], -v[120:121]
	v_add_f64 v[94:95], v[122:123], v[94:95]
	v_mul_f64 v[122:123], v[116:117], s[40:41]
	v_fmac_f64_e32 v[120:121], s[14:15], v[166:167]
	v_add_f64 v[98:99], v[120:121], v[98:99]
	v_fma_f64 v[120:121], v[168:169], s[14:15], -v[122:123]
	v_mul_f64 v[118:119], v[118:119], s[30:31]
	v_add_f64 v[100:101], v[120:121], v[100:101]
	v_fma_f64 v[120:121], v[166:167], s[20:21], -v[118:119]
	v_mul_f64 v[116:117], v[116:117], s[30:31]
	v_fmac_f64_e32 v[118:119], s[20:21], v[166:167]
	v_add_f64 v[102:103], v[120:121], v[102:103]
	v_fma_f64 v[120:121], s[20:21], v[168:169], v[116:117]
	v_add_f64 v[106:107], v[118:119], v[106:107]
	v_fma_f64 v[116:117], v[168:169], s[20:21], -v[116:117]
	v_add_f64 v[118:119], v[30:31], -v[74:75]
	v_add_f64 v[108:109], v[116:117], v[108:109]
	v_add_f64 v[186:187], v[28:29], v[72:73]
	v_add_f64 v[116:117], v[28:29], -v[72:73]
	v_mul_f64 v[174:175], v[118:119], s[40:41]
	v_add_f64 v[104:105], v[120:121], v[104:105]
	v_add_f64 v[188:189], v[30:31], v[74:75]
	v_mul_f64 v[178:179], v[116:117], s[40:41]
	v_fma_f64 v[120:121], s[14:15], v[186:187], v[174:175]
	v_add_f64 v[110:111], v[120:121], v[110:111]
	v_fma_f64 v[120:121], v[188:189], s[14:15], -v[178:179]
	v_mul_f64 v[182:183], v[118:119], s[36:37]
	v_add_f64 v[0:1], v[120:121], v[0:1]
	v_mul_f64 v[184:185], v[116:117], s[36:37]
	v_fma_f64 v[120:121], s[22:23], v[186:187], v[182:183]
	v_add_f64 v[2:3], v[120:121], v[2:3]
	v_fma_f64 v[120:121], v[188:189], s[22:23], -v[184:185]
	v_mul_f64 v[190:191], v[118:119], s[48:49]
	;; [unrolled: 6-line block ×3, first 2 shown]
	v_add_f64 v[8:9], v[120:121], v[8:9]
	v_mul_f64 v[200:201], v[116:117], s[44:45]
	v_fma_f64 v[120:121], s[0:1], v[186:187], v[196:197]
	v_add_f64 v[112:113], v[120:121], v[112:113]
	v_fma_f64 v[120:121], v[188:189], s[0:1], -v[200:201]
	v_add_f64 v[114:115], v[120:121], v[114:115]
	v_mul_f64 v[120:121], v[118:119], s[34:35]
	v_add_f64 v[88:89], v[124:125], v[88:89]
	v_fma_f64 v[124:125], s[14:15], v[168:169], v[122:123]
	v_fma_f64 v[122:123], v[186:187], s[6:7], -v[120:121]
	v_add_f64 v[10:11], v[122:123], v[10:11]
	v_mul_f64 v[122:123], v[116:117], s[34:35]
	v_fmac_f64_e32 v[120:121], s[6:7], v[186:187]
	v_add_f64 v[46:47], v[120:121], v[46:47]
	v_fma_f64 v[120:121], v[188:189], s[6:7], -v[122:123]
	v_add_f64 v[64:65], v[120:121], v[64:65]
	v_mul_f64 v[120:121], v[118:119], s[30:31]
	v_add_f64 v[96:97], v[124:125], v[96:97]
	v_fma_f64 v[124:125], s[6:7], v[188:189], v[122:123]
	v_fma_f64 v[122:123], v[186:187], s[20:21], -v[120:121]
	v_add_f64 v[66:67], v[122:123], v[66:67]
	v_mul_f64 v[122:123], v[116:117], s[30:31]
	v_fmac_f64_e32 v[120:121], s[20:21], v[186:187]
	v_add_f64 v[90:91], v[120:121], v[90:91]
	v_fma_f64 v[120:121], v[188:189], s[20:21], -v[122:123]
	s_mov_b32 s53, 0x3fe9895b
	s_mov_b32 s52, s26
	v_add_f64 v[92:93], v[120:121], v[92:93]
	v_mul_f64 v[120:121], v[118:119], s[52:53]
	v_add_f64 v[44:45], v[124:125], v[44:45]
	v_fma_f64 v[124:125], s[20:21], v[188:189], v[122:123]
	v_fma_f64 v[122:123], v[186:187], s[18:19], -v[120:121]
	v_add_f64 v[94:95], v[122:123], v[94:95]
	v_mul_f64 v[122:123], v[116:117], s[52:53]
	v_fmac_f64_e32 v[120:121], s[18:19], v[186:187]
	v_add_f64 v[98:99], v[120:121], v[98:99]
	v_fma_f64 v[120:121], v[188:189], s[18:19], -v[122:123]
	v_mul_f64 v[118:119], v[118:119], s[42:43]
	v_add_f64 v[100:101], v[120:121], v[100:101]
	v_fma_f64 v[120:121], v[186:187], s[16:17], -v[118:119]
	v_mul_f64 v[116:117], v[116:117], s[42:43]
	v_fmac_f64_e32 v[118:119], s[16:17], v[186:187]
	v_add_f64 v[102:103], v[120:121], v[102:103]
	v_fma_f64 v[120:121], s[16:17], v[188:189], v[116:117]
	v_add_f64 v[106:107], v[118:119], v[106:107]
	v_fma_f64 v[116:117], v[188:189], s[16:17], -v[116:117]
	v_add_f64 v[118:119], v[34:35], -v[70:71]
	v_add_f64 v[108:109], v[116:117], v[108:109]
	v_add_f64 v[206:207], v[32:33], v[68:69]
	v_add_f64 v[116:117], v[32:33], -v[68:69]
	v_mul_f64 v[194:195], v[118:119], s[24:25]
	v_add_f64 v[104:105], v[120:121], v[104:105]
	v_add_f64 v[208:209], v[34:35], v[70:71]
	v_mul_f64 v[198:199], v[116:117], s[24:25]
	v_fma_f64 v[120:121], s[10:11], v[206:207], v[194:195]
	v_add_f64 v[110:111], v[120:121], v[110:111]
	v_fma_f64 v[120:121], v[208:209], s[10:11], -v[198:199]
	v_mul_f64 v[152:153], v[118:119], s[50:51]
	v_add_f64 v[0:1], v[120:121], v[0:1]
	v_mul_f64 v[204:205], v[116:117], s[50:51]
	v_fma_f64 v[120:121], s[20:21], v[206:207], v[152:153]
	v_add_f64 v[2:3], v[120:121], v[2:3]
	v_fma_f64 v[120:121], v[208:209], s[20:21], -v[204:205]
	v_mul_f64 v[210:211], v[118:119], s[42:43]
	;; [unrolled: 6-line block ×3, first 2 shown]
	v_add_f64 v[8:9], v[120:121], v[8:9]
	v_mul_f64 v[220:221], v[116:117], s[34:35]
	v_fma_f64 v[120:121], s[6:7], v[206:207], v[216:217]
	v_add_f64 v[112:113], v[120:121], v[112:113]
	v_fma_f64 v[120:121], v[208:209], s[6:7], -v[220:221]
	v_add_f64 v[114:115], v[120:121], v[114:115]
	v_mul_f64 v[120:121], v[118:119], s[36:37]
	v_add_f64 v[88:89], v[124:125], v[88:89]
	v_fma_f64 v[124:125], s[18:19], v[188:189], v[122:123]
	v_fma_f64 v[122:123], v[206:207], s[22:23], -v[120:121]
	v_add_f64 v[10:11], v[122:123], v[10:11]
	v_mul_f64 v[122:123], v[116:117], s[36:37]
	v_fmac_f64_e32 v[120:121], s[22:23], v[206:207]
	v_add_f64 v[46:47], v[120:121], v[46:47]
	v_fma_f64 v[120:121], v[208:209], s[22:23], -v[122:123]
	s_mov_b32 s35, 0x3fefdd0d
	s_mov_b32 s34, s40
	v_add_f64 v[64:65], v[120:121], v[64:65]
	v_mul_f64 v[120:121], v[118:119], s[34:35]
	v_add_f64 v[96:97], v[124:125], v[96:97]
	v_fma_f64 v[124:125], s[22:23], v[208:209], v[122:123]
	v_fma_f64 v[122:123], v[206:207], s[14:15], -v[120:121]
	v_add_f64 v[66:67], v[122:123], v[66:67]
	v_mul_f64 v[122:123], v[116:117], s[34:35]
	v_fmac_f64_e32 v[120:121], s[14:15], v[206:207]
	v_add_f64 v[90:91], v[120:121], v[90:91]
	v_fma_f64 v[120:121], v[208:209], s[14:15], -v[122:123]
	v_add_f64 v[92:93], v[120:121], v[92:93]
	v_mul_f64 v[120:121], v[118:119], s[38:39]
	v_add_f64 v[44:45], v[124:125], v[44:45]
	v_fma_f64 v[124:125], s[14:15], v[208:209], v[122:123]
	v_fma_f64 v[122:123], v[206:207], s[0:1], -v[120:121]
	v_add_f64 v[94:95], v[122:123], v[94:95]
	v_mul_f64 v[122:123], v[116:117], s[38:39]
	v_fmac_f64_e32 v[120:121], s[0:1], v[206:207]
	v_add_f64 v[98:99], v[120:121], v[98:99]
	v_fma_f64 v[120:121], v[208:209], s[0:1], -v[122:123]
	v_mul_f64 v[118:119], v[118:119], s[26:27]
	v_add_f64 v[100:101], v[120:121], v[100:101]
	v_fma_f64 v[120:121], v[206:207], s[18:19], -v[118:119]
	v_mul_f64 v[116:117], v[116:117], s[26:27]
	v_fmac_f64_e32 v[118:119], s[18:19], v[206:207]
	v_add_f64 v[102:103], v[120:121], v[102:103]
	v_fma_f64 v[120:121], s[18:19], v[208:209], v[116:117]
	v_add_f64 v[106:107], v[118:119], v[106:107]
	v_fma_f64 v[116:117], v[208:209], s[18:19], -v[116:117]
	v_add_f64 v[118:119], v[38:39], -v[62:63]
	v_add_f64 v[108:109], v[116:117], v[108:109]
	v_add_f64 v[226:227], v[36:37], v[60:61]
	v_add_f64 v[116:117], v[36:37], -v[60:61]
	v_mul_f64 v[214:215], v[118:119], s[26:27]
	v_add_f64 v[104:105], v[120:121], v[104:105]
	v_add_f64 v[228:229], v[38:39], v[62:63]
	v_mul_f64 v[218:219], v[116:117], s[26:27]
	v_fma_f64 v[120:121], s[18:19], v[226:227], v[214:215]
	v_add_f64 v[110:111], v[120:121], v[110:111]
	v_fma_f64 v[120:121], v[228:229], s[18:19], -v[218:219]
	v_mul_f64 v[222:223], v[118:119], s[48:49]
	v_add_f64 v[0:1], v[120:121], v[0:1]
	v_mul_f64 v[224:225], v[116:117], s[48:49]
	v_fma_f64 v[120:121], s[10:11], v[226:227], v[222:223]
	v_add_f64 v[2:3], v[120:121], v[2:3]
	v_fma_f64 v[120:121], v[228:229], s[10:11], -v[224:225]
	v_mul_f64 v[230:231], v[118:119], s[38:39]
	v_add_f64 v[120:121], v[120:121], v[4:5]
	v_mul_f64 v[232:233], v[116:117], s[38:39]
	v_fma_f64 v[4:5], s[0:1], v[226:227], v[230:231]
	v_add_f64 v[88:89], v[124:125], v[88:89]
	v_fma_f64 v[124:125], s[0:1], v[208:209], v[122:123]
	v_add_f64 v[122:123], v[4:5], v[6:7]
	v_fma_f64 v[4:5], v[228:229], s[0:1], -v[232:233]
	v_mul_f64 v[238:239], v[118:119], s[30:31]
	v_add_f64 v[96:97], v[124:125], v[96:97]
	v_add_f64 v[124:125], v[4:5], v[8:9]
	v_mul_f64 v[242:243], v[116:117], s[30:31]
	v_fma_f64 v[4:5], s[20:21], v[226:227], v[238:239]
	v_add_f64 v[112:113], v[4:5], v[112:113]
	v_fma_f64 v[4:5], v[228:229], s[20:21], -v[242:243]
	v_add_f64 v[114:115], v[4:5], v[114:115]
	v_mul_f64 v[4:5], v[118:119], s[34:35]
	v_fma_f64 v[6:7], v[226:227], s[14:15], -v[4:5]
	v_add_f64 v[126:127], v[6:7], v[10:11]
	v_mul_f64 v[6:7], v[116:117], s[34:35]
	v_fmac_f64_e32 v[4:5], s[14:15], v[226:227]
	v_add_f64 v[134:135], v[4:5], v[46:47]
	v_fma_f64 v[4:5], v[228:229], s[14:15], -v[6:7]
	v_add_f64 v[138:139], v[4:5], v[64:65]
	v_mul_f64 v[4:5], v[118:119], s[46:47]
	v_fma_f64 v[8:9], s[14:15], v[228:229], v[6:7]
	v_fma_f64 v[6:7], v[226:227], s[16:17], -v[4:5]
	v_add_f64 v[140:141], v[6:7], v[66:67]
	v_mul_f64 v[6:7], v[116:117], s[46:47]
	v_fmac_f64_e32 v[4:5], s[16:17], v[226:227]
	v_add_f64 v[144:145], v[4:5], v[90:91]
	v_fma_f64 v[4:5], v[228:229], s[16:17], -v[6:7]
	v_add_f64 v[150:151], v[4:5], v[92:93]
	v_mul_f64 v[4:5], v[118:119], s[36:37]
	v_add_f64 v[128:129], v[8:9], v[44:45]
	v_fma_f64 v[8:9], s[16:17], v[228:229], v[6:7]
	v_fma_f64 v[6:7], v[226:227], s[22:23], -v[4:5]
	v_add_f64 v[254:255], v[6:7], v[94:95]
	v_mul_f64 v[6:7], v[116:117], s[36:37]
	v_fmac_f64_e32 v[4:5], s[22:23], v[226:227]
	v_add_f64 v[156:157], v[4:5], v[98:99]
	v_fma_f64 v[4:5], v[228:229], s[22:23], -v[6:7]
	v_add_f64 v[158:159], v[4:5], v[100:101]
	v_mul_f64 v[4:5], v[118:119], s[28:29]
	v_add_f64 v[142:143], v[8:9], v[88:89]
	v_fma_f64 v[8:9], s[22:23], v[228:229], v[6:7]
	v_fma_f64 v[6:7], v[226:227], s[6:7], -v[4:5]
	v_add_f64 v[118:119], v[6:7], v[102:103]
	v_mul_f64 v[6:7], v[116:117], s[28:29]
	v_fmac_f64_e32 v[4:5], s[6:7], v[226:227]
	v_add_f64 v[160:161], v[4:5], v[106:107]
	v_fma_f64 v[4:5], v[228:229], s[6:7], -v[6:7]
	v_add_f64 v[162:163], v[4:5], v[108:109]
	v_add_f64 v[108:109], v[42:43], -v[58:59]
	v_add_f64 v[246:247], v[40:41], v[56:57]
	v_add_f64 v[164:165], v[40:41], -v[56:57]
	v_mul_f64 v[234:235], v[108:109], s[30:31]
	v_add_f64 v[248:249], v[42:43], v[58:59]
	v_mul_f64 v[236:237], v[164:165], s[30:31]
	v_fma_f64 v[4:5], s[20:21], v[246:247], v[234:235]
	v_add_f64 v[170:171], v[4:5], v[110:111]
	v_fma_f64 v[4:5], v[248:249], s[20:21], -v[236:237]
	v_mul_f64 v[240:241], v[108:109], s[28:29]
	v_add_f64 v[172:173], v[4:5], v[0:1]
	v_mul_f64 v[244:245], v[164:165], s[28:29]
	v_fma_f64 v[0:1], s[6:7], v[246:247], v[240:241]
	v_add_f64 v[4:5], v[0:1], v[2:3]
	v_fma_f64 v[0:1], v[248:249], s[6:7], -v[244:245]
	v_mul_f64 v[250:251], v[108:109], s[40:41]
	v_add_f64 v[154:155], v[8:9], v[96:97]
	v_fma_f64 v[8:9], s[6:7], v[228:229], v[6:7]
	v_add_f64 v[6:7], v[0:1], v[120:121]
	v_mul_f64 v[252:253], v[164:165], s[40:41]
	v_fma_f64 v[0:1], s[14:15], v[246:247], v[250:251]
	v_add_f64 v[116:117], v[8:9], v[104:105]
	v_add_f64 v[8:9], v[0:1], v[122:123]
	v_fma_f64 v[0:1], v[248:249], s[14:15], -v[252:253]
	v_mul_f64 v[122:123], v[108:109], s[52:53]
	v_add_f64 v[10:11], v[0:1], v[124:125]
	v_mul_f64 v[124:125], v[164:165], s[52:53]
	v_fma_f64 v[0:1], s[18:19], v[246:247], v[122:123]
	v_add_f64 v[44:45], v[0:1], v[112:113]
	v_fma_f64 v[0:1], v[248:249], s[18:19], -v[124:125]
	v_add_f64 v[46:47], v[0:1], v[114:115]
	v_mul_f64 v[0:1], v[108:109], s[38:39]
	v_fma_f64 v[2:3], v[246:247], s[0:1], -v[0:1]
	v_add_f64 v[64:65], v[2:3], v[126:127]
	v_mul_f64 v[2:3], v[164:165], s[38:39]
	v_fmac_f64_e32 v[0:1], s[0:1], v[246:247]
	v_add_f64 v[88:89], v[0:1], v[134:135]
	v_fma_f64 v[0:1], v[248:249], s[0:1], -v[2:3]
	v_add_f64 v[90:91], v[0:1], v[138:139]
	v_mul_f64 v[0:1], v[108:109], s[36:37]
	v_fma_f64 v[66:67], s[0:1], v[248:249], v[2:3]
	v_fma_f64 v[2:3], v[246:247], s[22:23], -v[0:1]
	v_add_f64 v[92:93], v[2:3], v[140:141]
	v_mul_f64 v[2:3], v[164:165], s[36:37]
	v_fmac_f64_e32 v[0:1], s[22:23], v[246:247]
	v_add_f64 v[96:97], v[0:1], v[144:145]
	v_fma_f64 v[0:1], v[248:249], s[22:23], -v[2:3]
	v_add_f64 v[98:99], v[0:1], v[150:151]
	v_mul_f64 v[0:1], v[108:109], s[42:43]
	v_fma_f64 v[94:95], s[22:23], v[248:249], v[2:3]
	;; [unrolled: 9-line block ×3, first 2 shown]
	v_fma_f64 v[2:3], v[246:247], s[10:11], -v[0:1]
	v_add_f64 v[108:109], v[2:3], v[118:119]
	v_mul_f64 v[2:3], v[164:165], s[24:25]
	v_fma_f64 v[110:111], s[10:11], v[248:249], v[2:3]
	v_add_f64 v[118:119], v[50:51], -v[54:55]
	v_add_f64 v[110:111], v[110:111], v[116:117]
	v_add_f64 v[126:127], v[48:49], v[52:53]
	v_add_f64 v[116:117], v[48:49], -v[52:53]
	v_mul_f64 v[134:135], v[118:119], s[44:45]
	v_add_f64 v[66:67], v[66:67], v[128:129]
	v_add_f64 v[128:129], v[50:51], v[54:55]
	v_mul_f64 v[138:139], v[116:117], s[44:45]
	v_fma_f64 v[140:141], s[0:1], v[126:127], v[134:135]
	v_add_f64 v[4:5], v[140:141], v[4:5]
	v_fma_f64 v[140:141], v[128:129], s[0:1], -v[138:139]
	v_add_f64 v[6:7], v[140:141], v[6:7]
	v_mul_f64 v[140:141], v[118:119], s[30:31]
	v_add_f64 v[94:95], v[94:95], v[142:143]
	v_mul_f64 v[142:143], v[116:117], s[30:31]
	v_fma_f64 v[144:145], s[20:21], v[126:127], v[140:141]
	v_add_f64 v[8:9], v[144:145], v[8:9]
	v_fma_f64 v[144:145], v[128:129], s[20:21], -v[142:143]
	v_add_f64 v[10:11], v[144:145], v[10:11]
	v_mul_f64 v[144:145], v[118:119], s[42:43]
	;; [unrolled: 7-line block ×3, first 2 shown]
	v_fma_f64 v[156:157], v[126:127], s[18:19], -v[154:155]
	v_add_f64 v[64:65], v[156:157], v[64:65]
	v_mul_f64 v[156:157], v[116:117], s[26:27]
	v_fmac_f64_e32 v[154:155], s[18:19], v[126:127]
	v_add_f64 v[88:89], v[154:155], v[88:89]
	v_fma_f64 v[154:155], v[128:129], s[18:19], -v[156:157]
	v_add_f64 v[90:91], v[154:155], v[90:91]
	v_mul_f64 v[154:155], v[118:119], s[28:29]
	v_fma_f64 v[158:159], s[18:19], v[128:129], v[156:157]
	v_fma_f64 v[156:157], v[126:127], s[6:7], -v[154:155]
	v_add_f64 v[92:93], v[156:157], v[92:93]
	v_mul_f64 v[156:157], v[116:117], s[28:29]
	v_fmac_f64_e32 v[154:155], s[6:7], v[126:127]
	v_add_f64 v[96:97], v[154:155], v[96:97]
	v_fma_f64 v[154:155], v[128:129], s[6:7], -v[156:157]
	v_add_f64 v[98:99], v[154:155], v[98:99]
	v_mul_f64 v[154:155], v[118:119], s[24:25]
	v_add_f64 v[66:67], v[158:159], v[66:67]
	v_fma_f64 v[158:159], s[6:7], v[128:129], v[156:157]
	v_fma_f64 v[156:157], v[126:127], s[10:11], -v[154:155]
	v_add_f64 v[100:101], v[156:157], v[100:101]
	v_mul_f64 v[156:157], v[116:117], s[24:25]
	v_fmac_f64_e32 v[154:155], s[10:11], v[126:127]
	v_fmac_f64_e32 v[0:1], s[10:11], v[246:247]
	v_mul_f64 v[254:255], v[118:119], s[36:37]
	v_add_f64 v[104:105], v[154:155], v[104:105]
	v_fma_f64 v[154:155], v[128:129], s[10:11], -v[156:157]
	v_mul_f64 v[118:119], v[118:119], s[34:35]
	v_add_f64 v[112:113], v[0:1], v[160:161]
	v_fma_f64 v[0:1], v[248:249], s[10:11], -v[2:3]
	;; [unrolled: 3-line block ×3, first 2 shown]
	v_mul_f64 v[116:117], v[116:117], s[34:35]
	v_add_f64 v[114:115], v[0:1], v[162:163]
	v_fma_f64 v[0:1], s[22:23], v[126:127], v[254:255]
	v_fma_f64 v[2:3], v[128:129], s[22:23], -v[120:121]
	v_add_f64 v[94:95], v[158:159], v[94:95]
	v_fma_f64 v[158:159], s[10:11], v[128:129], v[156:157]
	v_add_f64 v[108:109], v[154:155], v[108:109]
	v_fma_f64 v[154:155], s[14:15], v[128:129], v[116:117]
	v_fmac_f64_e32 v[118:119], s[14:15], v[126:127]
	v_fma_f64 v[116:117], v[128:129], s[14:15], -v[116:117]
	v_add_f64 v[0:1], v[0:1], v[170:171]
	v_add_f64 v[2:3], v[2:3], v[172:173]
	;; [unrolled: 1-line block ×6, first 2 shown]
	v_mul_lo_u16_e32 v203, 17, v137
	s_barrier
	s_and_saveexec_b64 s[24:25], vcc
	s_cbranch_execz .LBB0_7
; %bb.6:
	v_accvgpr_read_b32 v161, a39
	v_mul_f64 v[158:159], v[148:149], s[22:23]
	v_accvgpr_read_b32 v160, a38
	v_accvgpr_read_b32 v163, a19
	v_add_f64 v[158:159], v[160:161], v[158:159]
	v_mul_f64 v[160:161], v[132:133], s[14:15]
	v_accvgpr_read_b32 v162, a18
	v_add_f64 v[160:161], v[162:163], v[160:161]
	v_mul_f64 v[156:157], v[168:169], s[10:11]
	v_add_f64 v[160:161], v[14:15], v[160:161]
	v_add_f64 v[156:157], v[180:181], v[156:157]
	;; [unrolled: 1-line block ×3, first 2 shown]
	v_accvgpr_read_b32 v161, a33
	v_add_f64 v[156:157], v[156:157], v[158:159]
	v_mul_f64 v[158:159], v[146:147], s[22:23]
	v_accvgpr_read_b32 v160, a32
	v_accvgpr_read_b32 v163, a17
	v_mul_f64 v[116:117], v[128:129], s[16:17]
	v_mul_f64 v[154:155], v[188:189], s[0:1]
	v_add_f64 v[158:159], v[158:159], -v[160:161]
	v_mul_f64 v[160:161], v[130:131], s[14:15]
	v_accvgpr_read_b32 v162, a16
	v_add_f64 v[116:117], v[150:151], v[116:117]
	v_mul_f64 v[118:119], v[248:249], s[18:19]
	v_mul_f64 v[150:151], v[208:209], s[6:7]
	v_add_f64 v[154:155], v[200:201], v[154:155]
	v_add_f64 v[160:161], v[160:161], -v[162:163]
	v_add_f64 v[118:119], v[124:125], v[118:119]
	v_mul_f64 v[124:125], v[228:229], s[20:21]
	v_add_f64 v[150:151], v[220:221], v[150:151]
	v_add_f64 v[154:155], v[154:155], v[156:157]
	v_mul_f64 v[156:157], v[166:167], s[10:11]
	v_add_f64 v[160:161], v[12:13], v[160:161]
	v_add_f64 v[124:125], v[242:243], v[124:125]
	;; [unrolled: 1-line block ×3, first 2 shown]
	v_mul_f64 v[154:155], v[186:187], s[0:1]
	v_add_f64 v[156:157], v[156:157], -v[176:177]
	v_add_f64 v[158:159], v[158:159], v[160:161]
	v_add_f64 v[124:125], v[124:125], v[150:151]
	v_mul_f64 v[150:151], v[206:207], s[6:7]
	v_add_f64 v[154:155], v[154:155], -v[196:197]
	v_add_f64 v[156:157], v[156:157], v[158:159]
	v_add_f64 v[150:151], v[150:151], -v[216:217]
	v_add_f64 v[154:155], v[154:155], v[156:157]
	v_accvgpr_read_b32 v157, a47
	v_add_f64 v[118:119], v[118:119], v[124:125]
	v_mul_f64 v[124:125], v[126:127], s[16:17]
	v_add_f64 v[150:151], v[150:151], v[154:155]
	v_mul_f64 v[154:155], v[168:169], s[22:23]
	v_accvgpr_read_b32 v156, a46
	v_accvgpr_read_b32 v159, a31
	v_add_f64 v[124:125], v[124:125], -v[144:145]
	v_mul_f64 v[144:145], v[246:247], s[18:19]
	v_add_f64 v[154:155], v[156:157], v[154:155]
	v_mul_f64 v[156:157], v[148:149], s[18:19]
	v_accvgpr_read_b32 v158, a30
	v_accvgpr_read_b32 v161, a15
	v_add_f64 v[122:123], v[144:145], -v[122:123]
	v_mul_f64 v[144:145], v[226:227], s[20:21]
	v_add_f64 v[156:157], v[158:159], v[156:157]
	v_mul_f64 v[158:159], v[132:133], s[6:7]
	v_accvgpr_read_b32 v160, a14
	v_add_f64 v[144:145], v[144:145], -v[238:239]
	v_add_f64 v[158:159], v[160:161], v[158:159]
	v_add_f64 v[144:145], v[144:145], v[150:151]
	;; [unrolled: 1-line block ×4, first 2 shown]
	v_mul_f64 v[150:151], v[188:189], s[10:11]
	v_add_f64 v[156:157], v[156:157], v[158:159]
	v_add_f64 v[118:119], v[116:117], v[118:119]
	;; [unrolled: 1-line block ×3, first 2 shown]
	v_mul_f64 v[122:123], v[128:129], s[20:21]
	v_mul_f64 v[144:145], v[208:209], s[16:17]
	v_add_f64 v[150:151], v[192:193], v[150:151]
	v_add_f64 v[154:155], v[154:155], v[156:157]
	v_mul_f64 v[170:171], v[186:187], s[10:11]
	v_add_f64 v[122:123], v[142:143], v[122:123]
	v_mul_f64 v[142:143], v[228:229], s[0:1]
	v_add_f64 v[144:145], v[212:213], v[144:145]
	v_add_f64 v[150:151], v[150:151], v[154:155]
	v_add_f64 v[170:171], v[170:171], -v[190:191]
	v_accvgpr_read_b32 v191, a13
	v_add_f64 v[142:143], v[232:233], v[142:143]
	v_mul_f64 v[160:161], v[130:131], s[0:1]
	v_mul_f64 v[156:157], v[130:131], s[16:17]
	;; [unrolled: 1-line block ×3, first 2 shown]
	v_add_f64 v[144:145], v[144:145], v[150:151]
	v_accvgpr_read_b32 v181, a29
	v_accvgpr_read_b32 v190, a12
	v_mul_f64 v[154:155], v[146:147], s[16:17]
	v_add_f64 v[142:143], v[142:143], v[144:145]
	v_mul_f64 v[144:145], v[146:147], s[14:15]
	v_mul_f64 v[146:147], v[146:147], s[18:19]
	v_accvgpr_read_b32 v180, a28
	v_add_f64 v[130:131], v[130:131], -v[190:191]
	v_add_f64 v[146:147], v[146:147], -v[180:181]
	v_add_f64 v[130:131], v[12:13], v[130:131]
	v_add_f64 v[130:131], v[146:147], v[130:131]
	v_mul_f64 v[146:147], v[188:189], s[14:15]
	v_mul_f64 v[188:189], v[188:189], s[22:23]
	v_add_f64 v[184:185], v[184:185], v[188:189]
	v_accvgpr_read_b32 v189, a43
	v_mul_f64 v[180:181], v[168:169], s[6:7]
	v_mul_f64 v[168:169], v[168:169], s[18:19]
	v_accvgpr_read_b32 v188, a42
	v_add_f64 v[168:169], v[188:189], v[168:169]
	v_accvgpr_read_b32 v189, a27
	v_mul_f64 v[150:151], v[148:149], s[16:17]
	v_mul_f64 v[148:149], v[148:149], s[14:15]
	v_accvgpr_read_b32 v188, a26
	;; [unrolled: 5-line block ×3, first 2 shown]
	v_add_f64 v[132:133], v[188:189], v[132:133]
	v_accvgpr_read_b32 v177, a45
	v_add_f64 v[132:133], v[14:15], v[132:133]
	v_mul_f64 v[172:173], v[166:167], s[22:23]
	v_accvgpr_read_b32 v176, a44
	v_add_f64 v[132:133], v[148:149], v[132:133]
	v_add_f64 v[172:173], v[172:173], -v[176:177]
	v_mul_f64 v[196:197], v[208:209], s[20:21]
	v_add_f64 v[132:133], v[168:169], v[132:133]
	v_mul_f64 v[164:165], v[206:207], s[16:17]
	v_add_f64 v[130:131], v[172:173], v[130:131]
	v_mul_f64 v[172:173], v[206:207], s[10:11]
	v_mul_f64 v[192:193], v[206:207], s[20:21]
	;; [unrolled: 1-line block ×3, first 2 shown]
	v_add_f64 v[196:197], v[204:205], v[196:197]
	v_add_f64 v[132:133], v[184:185], v[132:133]
	;; [unrolled: 1-line block ×3, first 2 shown]
	v_mul_f64 v[170:171], v[208:209], s[10:11]
	v_mul_f64 v[208:209], v[248:249], s[6:7]
	v_add_f64 v[206:207], v[224:225], v[206:207]
	v_add_f64 v[132:133], v[196:197], v[132:133]
	v_add_f64 v[164:165], v[164:165], -v[210:211]
	v_mul_f64 v[210:211], v[128:129], s[0:1]
	v_mul_f64 v[212:213], v[128:129], s[22:23]
	v_add_f64 v[128:129], v[244:245], v[208:209]
	v_add_f64 v[132:133], v[206:207], v[132:133]
	v_add_f64 v[138:139], v[138:139], v[210:211]
	v_add_f64 v[128:129], v[128:129], v[132:133]
	v_mul_f64 v[124:125], v[248:249], s[14:15]
	v_add_f64 v[128:129], v[138:139], v[128:129]
	v_add_f64 v[138:139], v[192:193], -v[152:153]
	v_accvgpr_read_b32 v153, a25
	v_add_f64 v[124:125], v[252:253], v[124:125]
	v_accvgpr_read_b32 v152, a24
	v_add_f64 v[124:125], v[124:125], v[142:143]
	v_mul_f64 v[142:143], v[126:127], s[20:21]
	v_mul_f64 v[162:163], v[226:227], s[0:1]
	v_add_f64 v[144:145], v[144:145], -v[152:153]
	v_accvgpr_read_b32 v153, a9
	v_add_f64 v[140:141], v[142:143], -v[140:141]
	v_mul_f64 v[142:143], v[246:247], s[14:15]
	v_add_f64 v[162:163], v[162:163], -v[230:231]
	v_add_f64 v[130:131], v[164:165], v[130:131]
	v_accvgpr_read_b32 v152, a8
	v_add_f64 v[142:143], v[142:143], -v[250:251]
	v_add_f64 v[130:131], v[162:163], v[130:131]
	v_accvgpr_read_b32 v149, a41
	v_add_f64 v[152:153], v[156:157], -v[152:153]
	v_mul_f64 v[176:177], v[166:167], s[6:7]
	v_mul_f64 v[166:167], v[166:167], s[18:19]
	v_add_f64 v[130:131], v[142:143], v[130:131]
	v_accvgpr_read_b32 v148, a40
	v_add_f64 v[152:153], v[12:13], v[152:153]
	v_mul_f64 v[190:191], v[186:187], s[14:15]
	v_mul_f64 v[186:187], v[186:187], s[22:23]
	v_add_f64 v[124:125], v[122:123], v[124:125]
	v_add_f64 v[122:123], v[140:141], v[130:131]
	v_mul_f64 v[140:141], v[246:247], s[6:7]
	v_add_f64 v[148:149], v[166:167], -v[148:149]
	v_add_f64 v[144:145], v[144:145], v[152:153]
	v_add_f64 v[132:133], v[140:141], -v[240:241]
	v_add_f64 v[140:141], v[186:187], -v[182:183]
	v_add_f64 v[144:145], v[148:149], v[144:145]
	v_mul_f64 v[200:201], v[226:227], s[10:11]
	v_mul_f64 v[210:211], v[126:127], s[22:23]
	v_mul_f64 v[126:127], v[126:127], s[0:1]
	v_add_f64 v[140:141], v[140:141], v[144:145]
	v_add_f64 v[126:127], v[126:127], -v[134:135]
	v_add_f64 v[134:135], v[200:201], -v[222:223]
	v_add_f64 v[138:139], v[138:139], v[140:141]
	v_add_f64 v[134:135], v[134:135], v[138:139]
	;; [unrolled: 1-line block ×3, first 2 shown]
	v_accvgpr_read_b32 v147, a7
	v_accvgpr_read_b32 v145, a23
	;; [unrolled: 1-line block ×4, first 2 shown]
	v_add_f64 v[146:147], v[146:147], v[158:159]
	v_add_f64 v[144:145], v[144:145], v[150:151]
	;; [unrolled: 1-line block ×4, first 2 shown]
	v_accvgpr_read_b32 v147, a5
	v_accvgpr_read_b32 v146, a4
	v_add_f64 v[146:147], v[160:161], -v[146:147]
	v_accvgpr_read_b32 v141, a37
	v_add_f64 v[146:147], v[12:13], v[146:147]
	v_add_f64 v[14:15], v[18:19], v[14:15]
	;; [unrolled: 1-line block ×3, first 2 shown]
	v_accvgpr_read_b32 v140, a36
	v_add_f64 v[14:15], v[22:23], v[14:15]
	v_add_f64 v[12:13], v[20:21], v[12:13]
	;; [unrolled: 1-line block ×8, first 2 shown]
	v_mul_f64 v[162:163], v[228:229], s[18:19]
	v_add_f64 v[132:133], v[132:133], v[134:135]
	v_add_f64 v[134:135], v[198:199], v[170:171]
	;; [unrolled: 1-line block ×5, first 2 shown]
	v_mul_f64 v[130:131], v[248:249], s[20:21]
	v_add_f64 v[126:127], v[126:127], v[132:133]
	v_add_f64 v[132:133], v[218:219], v[162:163]
	;; [unrolled: 1-line block ×9, first 2 shown]
	v_mul_f64 v[142:143], v[246:247], s[20:21]
	v_add_f64 v[120:121], v[120:121], v[212:213]
	v_add_f64 v[130:131], v[130:131], v[132:133]
	v_accvgpr_read_b32 v145, a21
	v_add_f64 v[14:15], v[50:51], v[14:15]
	v_add_f64 v[12:13], v[48:49], v[12:13]
	;; [unrolled: 1-line block ×3, first 2 shown]
	v_add_f64 v[130:131], v[142:143], -v[234:235]
	v_accvgpr_read_b32 v143, a35
	v_accvgpr_read_b32 v144, a20
	v_add_f64 v[14:15], v[54:55], v[14:15]
	v_add_f64 v[12:13], v[52:53], v[12:13]
	v_accvgpr_read_b32 v142, a34
	v_add_f64 v[144:145], v[154:155], -v[144:145]
	v_add_f64 v[14:15], v[58:59], v[14:15]
	v_add_f64 v[12:13], v[56:57], v[12:13]
	v_add_f64 v[142:143], v[176:177], -v[142:143]
	v_add_f64 v[144:145], v[144:145], v[146:147]
	v_add_f64 v[14:15], v[62:63], v[14:15]
	;; [unrolled: 1-line block ×3, first 2 shown]
	v_add_f64 v[140:141], v[190:191], -v[174:175]
	v_add_f64 v[142:143], v[142:143], v[144:145]
	v_add_f64 v[14:15], v[70:71], v[14:15]
	;; [unrolled: 1-line block ×3, first 2 shown]
	v_mul_f64 v[164:165], v[226:227], s[18:19]
	v_add_f64 v[138:139], v[172:173], -v[194:195]
	v_add_f64 v[140:141], v[140:141], v[142:143]
	v_add_f64 v[14:15], v[74:75], v[14:15]
	;; [unrolled: 1-line block ×3, first 2 shown]
	v_add_f64 v[134:135], v[164:165], -v[214:215]
	v_add_f64 v[138:139], v[138:139], v[140:141]
	v_add_f64 v[14:15], v[14:15], v[78:79]
	;; [unrolled: 1-line block ×6, first 2 shown]
	v_accvgpr_read_b32 v16, a1
	v_add_f64 v[120:121], v[210:211], -v[254:255]
	v_add_f64 v[130:131], v[130:131], v[134:135]
	v_add_f64 v[14:15], v[14:15], v[86:87]
	;; [unrolled: 1-line block ×3, first 2 shown]
	v_add_lshl_u32 v16, v16, v203, 4
	v_add_f64 v[130:131], v[120:121], v[130:131]
	ds_write_b128 v16, v[12:15]
	ds_write_b128 v16, v[130:133] offset:16
	ds_write_b128 v16, v[126:129] offset:32
	ds_write_b128 v16, v[122:125] offset:48
	ds_write_b128 v16, v[116:119] offset:64
	ds_write_b128 v16, v[64:67] offset:80
	ds_write_b128 v16, v[92:95] offset:96
	ds_write_b128 v16, v[100:103] offset:112
	ds_write_b128 v16, v[108:111] offset:128
	ds_write_b128 v16, v[112:115] offset:144
	ds_write_b128 v16, v[104:107] offset:160
	ds_write_b128 v16, v[96:99] offset:176
	ds_write_b128 v16, v[88:91] offset:192
	ds_write_b128 v16, v[44:47] offset:208
	ds_write_b128 v16, v[8:11] offset:224
	ds_write_b128 v16, v[4:7] offset:240
	ds_write_b128 v16, v[0:3] offset:256
.LBB0_7:
	s_or_b64 exec, exec, s[24:25]
	v_lshlrev_b32_e32 v28, 6, v137
	s_load_dwordx4 s[0:3], s[2:3], 0x0
	s_waitcnt lgkmcnt(0)
	s_barrier
	global_load_dwordx4 v[24:27], v28, s[4:5]
	global_load_dwordx4 v[20:23], v28, s[4:5] offset:16
	global_load_dwordx4 v[16:19], v28, s[4:5] offset:32
	;; [unrolled: 1-line block ×3, first 2 shown]
	v_accvgpr_read_b32 v28, a1
	v_add_lshl_u32 v205, v28, v137, 4
	ds_read_b128 v[28:31], v205
	ds_read_b128 v[32:35], v205 offset:272
	ds_read_b128 v[36:39], v205 offset:544
	;; [unrolled: 1-line block ×4, first 2 shown]
	s_mov_b32 s6, 0x134454ff
	s_mov_b32 s7, 0x3fee6f0e
	;; [unrolled: 1-line block ×10, first 2 shown]
	s_waitcnt vmcnt(3) lgkmcnt(3)
	v_mul_f64 v[52:53], v[34:35], v[26:27]
	v_mul_f64 v[54:55], v[32:33], v[26:27]
	s_waitcnt vmcnt(2) lgkmcnt(2)
	v_mul_f64 v[56:57], v[38:39], v[22:23]
	s_waitcnt vmcnt(1) lgkmcnt(1)
	v_mul_f64 v[60:61], v[42:43], v[18:19]
	v_mul_f64 v[62:63], v[40:41], v[18:19]
	s_waitcnt vmcnt(0) lgkmcnt(0)
	v_mul_f64 v[68:69], v[50:51], v[14:15]
	v_mul_f64 v[58:59], v[36:37], v[22:23]
	;; [unrolled: 1-line block ×3, first 2 shown]
	v_fma_f64 v[32:33], v[32:33], v[24:25], -v[52:53]
	v_fmac_f64_e32 v[54:55], v[34:35], v[24:25]
	v_fma_f64 v[34:35], v[36:37], v[20:21], -v[56:57]
	v_fma_f64 v[36:37], v[40:41], v[16:17], -v[60:61]
	v_fmac_f64_e32 v[62:63], v[42:43], v[16:17]
	v_fma_f64 v[42:43], v[48:49], v[12:13], -v[68:69]
	v_fmac_f64_e32 v[58:59], v[38:39], v[20:21]
	v_fmac_f64_e32 v[70:71], v[50:51], v[12:13]
	v_add_f64 v[38:39], v[28:29], v[32:33]
	v_add_f64 v[40:41], v[34:35], v[36:37]
	;; [unrolled: 1-line block ×3, first 2 shown]
	v_add_f64 v[56:57], v[58:59], -v[62:63]
	v_add_f64 v[50:51], v[32:33], -v[34:35]
	;; [unrolled: 1-line block ×5, first 2 shown]
	v_add_f64 v[78:79], v[58:59], v[62:63]
	v_add_f64 v[80:81], v[32:33], -v[42:43]
	v_add_f64 v[82:83], v[34:35], -v[36:37]
	;; [unrolled: 1-line block ×4, first 2 shown]
	v_add_f64 v[86:87], v[54:55], v[70:71]
	v_add_f64 v[34:35], v[38:39], v[34:35]
	v_fma_f64 v[48:49], -0.5, v[40:41], v[28:29]
	v_fmac_f64_e32 v[28:29], -0.5, v[68:69]
	v_add_f64 v[52:53], v[54:55], -v[70:71]
	v_add_f64 v[76:77], v[30:31], v[54:55]
	v_add_f64 v[60:61], v[50:51], v[60:61]
	;; [unrolled: 1-line block ×3, first 2 shown]
	v_fma_f64 v[50:51], -0.5, v[78:79], v[30:31]
	v_add_f64 v[72:73], v[32:33], v[84:85]
	v_fmac_f64_e32 v[30:31], -0.5, v[86:87]
	v_add_f64 v[32:33], v[34:35], v[36:37]
	v_fma_f64 v[40:41], s[14:15], v[56:57], v[28:29]
	v_fmac_f64_e32 v[28:29], s[6:7], v[56:57]
	v_add_f64 v[38:39], v[76:77], v[58:59]
	v_fma_f64 v[36:37], s[6:7], v[52:53], v[48:49]
	v_fmac_f64_e32 v[48:49], s[14:15], v[52:53]
	v_add_f64 v[32:33], v[32:33], v[42:43]
	v_fmac_f64_e32 v[40:41], s[4:5], v[52:53]
	v_fmac_f64_e32 v[28:29], s[16:17], v[52:53]
	v_fma_f64 v[42:43], s[6:7], v[82:83], v[30:31]
	v_add_f64 v[52:53], v[58:59], -v[54:55]
	v_add_f64 v[54:55], v[62:63], -v[70:71]
	v_fmac_f64_e32 v[30:31], s[14:15], v[82:83]
	v_add_f64 v[34:35], v[38:39], v[62:63]
	v_fma_f64 v[38:39], s[14:15], v[80:81], v[50:51]
	v_fmac_f64_e32 v[50:51], s[6:7], v[80:81]
	v_fmac_f64_e32 v[42:43], s[16:17], v[80:81]
	v_add_f64 v[52:53], v[52:53], v[54:55]
	v_fmac_f64_e32 v[30:31], s[4:5], v[80:81]
	v_fmac_f64_e32 v[36:37], s[4:5], v[56:57]
	;; [unrolled: 1-line block ×7, first 2 shown]
	v_accvgpr_read_b32 v52, a2
	v_add_f64 v[34:35], v[34:35], v[70:71]
	v_fmac_f64_e32 v[36:37], s[10:11], v[60:61]
	v_fmac_f64_e32 v[48:49], s[10:11], v[60:61]
	v_fmac_f64_e32 v[40:41], s[10:11], v[68:69]
	v_fmac_f64_e32 v[28:29], s[10:11], v[68:69]
	v_fmac_f64_e32 v[38:39], s[10:11], v[72:73]
	v_fmac_f64_e32 v[50:51], s[10:11], v[72:73]
	v_lshl_add_u32 v204, v137, 4, v52
	ds_write_b128 v204, v[32:35]
	ds_write_b128 v204, v[36:39] offset:272
	ds_write_b128 v204, v[40:43] offset:544
	;; [unrolled: 1-line block ×4, first 2 shown]
	s_waitcnt lgkmcnt(0)
	s_barrier
	s_and_saveexec_b64 s[4:5], vcc
	s_cbranch_execz .LBB0_9
; %bb.8:
	global_load_dwordx4 v[52:55], v202, s[8:9] offset:1360
	s_add_u32 s6, s8, 0x550
	s_addc_u32 s7, s9, 0
	global_load_dwordx4 v[56:59], v202, s[6:7] offset:80
	global_load_dwordx4 v[60:63], v202, s[6:7] offset:160
	global_load_dwordx4 v[68:71], v202, s[6:7] offset:240
	global_load_dwordx4 v[72:75], v202, s[6:7] offset:320
	global_load_dwordx4 v[76:79], v202, s[6:7] offset:400
	global_load_dwordx4 v[80:83], v202, s[6:7] offset:480
	global_load_dwordx4 v[84:87], v202, s[6:7] offset:560
	global_load_dwordx4 v[116:119], v202, s[6:7] offset:640
	global_load_dwordx4 v[120:123], v202, s[6:7] offset:720
	global_load_dwordx4 v[124:127], v202, s[6:7] offset:800
	global_load_dwordx4 v[128:131], v202, s[6:7] offset:880
	global_load_dwordx4 v[132:135], v202, s[6:7] offset:960
	ds_read_b128 v[138:141], v204
	ds_read_b128 v[142:145], v204 offset:80
	global_load_dwordx4 v[146:149], v202, s[6:7] offset:1040
	ds_read_b128 v[150:153], v204 offset:160
	ds_read_b128 v[154:157], v204 offset:240
	;; [unrolled: 1-line block ×6, first 2 shown]
	global_load_dwordx4 v[174:177], v202, s[6:7] offset:1120
	ds_read_b128 v[178:181], v204 offset:640
	ds_read_b128 v[182:185], v204 offset:720
	;; [unrolled: 1-line block ×4, first 2 shown]
	global_load_dwordx4 v[194:197], v202, s[6:7] offset:1200
	global_load_dwordx4 v[198:201], v202, s[6:7] offset:1280
	s_waitcnt vmcnt(10) lgkmcnt(5)
	v_mul_f64 v[210:211], v[168:169], v[82:83]
	s_waitcnt vmcnt(9) lgkmcnt(4)
	v_mul_f64 v[212:213], v[172:173], v[86:87]
	;; [unrolled: 2-line block ×3, first 2 shown]
	v_mul_f64 v[206:207], v[140:141], v[54:55]
	v_mul_f64 v[208:209], v[138:139], v[54:55]
	v_fma_f64 v[206:207], v[138:139], v[52:53], -v[206:207]
	v_fmac_f64_e32 v[208:209], v[140:141], v[52:53]
	v_mul_f64 v[52:53], v[144:145], v[58:59]
	v_mul_f64 v[54:55], v[142:143], v[58:59]
	ds_write_b128 v204, v[206:209]
	v_mul_f64 v[138:139], v[152:153], v[62:63]
	v_mul_f64 v[58:59], v[150:151], v[62:63]
	;; [unrolled: 1-line block ×11, first 2 shown]
	s_waitcnt vmcnt(7) lgkmcnt(3)
	v_mul_f64 v[216:217], v[184:185], v[122:123]
	v_mul_f64 v[118:119], v[182:183], v[122:123]
	s_waitcnt vmcnt(6) lgkmcnt(2)
	v_mul_f64 v[218:219], v[188:189], v[126:127]
	v_mul_f64 v[122:123], v[186:187], v[126:127]
	v_fma_f64 v[52:53], v[142:143], v[56:57], -v[52:53]
	v_fmac_f64_e32 v[54:55], v[144:145], v[56:57]
	v_fma_f64 v[56:57], v[150:151], v[60:61], -v[138:139]
	v_fmac_f64_e32 v[58:59], v[152:153], v[60:61]
	;; [unrolled: 2-line block ×10, first 2 shown]
	ds_write_b128 v204, v[52:55] offset:80
	ds_write_b128 v204, v[56:59] offset:160
	;; [unrolled: 1-line block ×10, first 2 shown]
	ds_read_b128 v[56:59], v204 offset:960
	s_waitcnt vmcnt(5) lgkmcnt(12)
	v_mul_f64 v[52:53], v[192:193], v[130:131]
	v_mul_f64 v[54:55], v[190:191], v[130:131]
	v_fma_f64 v[52:53], v[190:191], v[128:129], -v[52:53]
	v_fmac_f64_e32 v[54:55], v[192:193], v[128:129]
	ds_write_b128 v204, v[52:55] offset:880
	ds_read_b128 v[52:55], v204 offset:1040
	s_waitcnt vmcnt(4) lgkmcnt(2)
	v_mul_f64 v[60:61], v[58:59], v[134:135]
	v_mul_f64 v[62:63], v[56:57], v[134:135]
	v_fma_f64 v[60:61], v[56:57], v[132:133], -v[60:61]
	v_fmac_f64_e32 v[62:63], v[58:59], v[132:133]
	ds_write_b128 v204, v[60:63] offset:960
	ds_read_b128 v[60:63], v204 offset:1120
	s_waitcnt vmcnt(3) lgkmcnt(2)
	v_mul_f64 v[56:57], v[54:55], v[148:149]
	v_mul_f64 v[58:59], v[52:53], v[148:149]
	v_fma_f64 v[56:57], v[52:53], v[146:147], -v[56:57]
	v_fmac_f64_e32 v[58:59], v[54:55], v[146:147]
	ds_read_b128 v[52:55], v204 offset:1200
	ds_write_b128 v204, v[56:59] offset:1040
	s_waitcnt vmcnt(2) lgkmcnt(2)
	v_mul_f64 v[56:57], v[62:63], v[176:177]
	v_mul_f64 v[58:59], v[60:61], v[176:177]
	v_fma_f64 v[56:57], v[60:61], v[174:175], -v[56:57]
	v_fmac_f64_e32 v[58:59], v[62:63], v[174:175]
	ds_write_b128 v204, v[56:59] offset:1120
	ds_read_b128 v[56:59], v204 offset:1280
	s_waitcnt vmcnt(1) lgkmcnt(3)
	v_mul_f64 v[60:61], v[54:55], v[196:197]
	v_mul_f64 v[62:63], v[52:53], v[196:197]
	v_fma_f64 v[60:61], v[52:53], v[194:195], -v[60:61]
	v_fmac_f64_e32 v[62:63], v[54:55], v[194:195]
	s_waitcnt vmcnt(0) lgkmcnt(0)
	v_mul_f64 v[52:53], v[58:59], v[200:201]
	v_mul_f64 v[54:55], v[56:57], v[200:201]
	v_fma_f64 v[52:53], v[56:57], v[198:199], -v[52:53]
	v_fmac_f64_e32 v[54:55], v[58:59], v[198:199]
	ds_write_b128 v204, v[60:63] offset:1200
	ds_write_b128 v204, v[52:55] offset:1280
.LBB0_9:
	s_or_b64 exec, exec, s[4:5]
	s_waitcnt lgkmcnt(0)
	s_barrier
	s_and_saveexec_b64 s[4:5], vcc
	s_cbranch_execz .LBB0_11
; %bb.10:
	ds_read_b128 v[32:35], v204
	ds_read_b128 v[36:39], v204 offset:80
	ds_read_b128 v[40:43], v204 offset:160
	;; [unrolled: 1-line block ×16, first 2 shown]
.LBB0_11:
	s_or_b64 exec, exec, s[4:5]
	s_waitcnt lgkmcnt(0)
	s_barrier
	s_and_saveexec_b64 s[4:5], vcc
	s_cbranch_execz .LBB0_13
; %bb.12:
	s_mov_b32 s34, 0xacd6c6b4
	s_mov_b32 s38, 0x5d8e7cdc
	v_add_f64 v[184:185], v[36:37], -v[0:1]
	s_mov_b32 s35, 0xbfc7851a
	s_mov_b32 s28, 0x7faef3
	v_add_f64 v[182:183], v[40:41], -v[4:5]
	s_mov_b32 s39, 0x3fd71e95
	s_mov_b32 s24, 0x370991
	v_mul_f64 v[84:85], v[184:185], s[34:35]
	v_add_f64 v[160:161], v[38:39], v[2:3]
	s_mov_b32 s29, 0xbfef7484
	v_add_f64 v[200:201], v[38:39], -v[2:3]
	s_mov_b32 s44, 0x2a9d6da3
	v_add_f64 v[174:175], v[28:29], -v[8:9]
	s_mov_b32 s22, 0x910ea3b9
	v_mul_f64 v[80:81], v[182:183], s[38:39]
	v_add_f64 v[156:157], v[42:43], v[6:7]
	s_mov_b32 s25, 0x3fedd6d0
	v_fma_f64 v[86:87], s[28:29], v[160:161], v[84:85]
	v_add_f64 v[198:199], v[42:43], -v[6:7]
	v_add_f64 v[180:181], v[36:37], v[0:1]
	v_mul_f64 v[130:131], v[200:201], s[34:35]
	v_add_f64 v[162:163], v[48:49], -v[44:45]
	s_mov_b32 s45, 0x3fe58eea
	s_mov_b32 s18, 0x75d4884
	v_mul_f64 v[76:77], v[174:175], s[30:31]
	v_add_f64 v[152:153], v[30:31], v[10:11]
	s_mov_b32 s23, 0xbfeb34fa
	v_fma_f64 v[82:83], s[24:25], v[156:157], v[80:81]
	v_add_f64 v[86:87], v[34:35], v[86:87]
	v_add_f64 v[196:197], v[30:31], -v[10:11]
	v_add_f64 v[178:179], v[40:41], v[4:5]
	v_mul_f64 v[126:127], v[198:199], s[38:39]
	v_fma_f64 v[132:133], v[180:181], s[28:29], -v[130:131]
	s_mov_b32 s36, 0x7c9e640b
	v_add_f64 v[158:159], v[64:65], -v[88:89]
	s_mov_b32 s16, 0x6ed5f1bb
	v_mul_f64 v[72:73], v[162:163], s[44:45]
	v_add_f64 v[148:149], v[50:51], v[46:47]
	s_mov_b32 s19, 0x3fe7a5f6
	v_fma_f64 v[78:79], s[22:23], v[152:153], v[76:77]
	v_add_f64 v[82:83], v[82:83], v[86:87]
	v_add_f64 v[194:195], v[50:51], -v[46:47]
	v_add_f64 v[176:177], v[28:29], v[8:9]
	v_mul_f64 v[122:123], v[196:197], s[30:31]
	v_fma_f64 v[128:129], v[178:179], s[24:25], -v[126:127]
	v_add_f64 v[132:133], v[32:33], v[132:133]
	s_mov_b32 s20, 0x923c349f
	v_add_f64 v[154:155], v[92:93], -v[96:97]
	s_mov_b32 s37, 0x3feca52d
	s_mov_b32 s14, 0x2b2883cd
	v_mul_f64 v[68:69], v[158:159], s[26:27]
	v_add_f64 v[144:145], v[66:67], v[90:91]
	s_mov_b32 s17, 0xbfe348c8
	v_fma_f64 v[74:75], s[18:19], v[148:149], v[72:73]
	v_add_f64 v[78:79], v[78:79], v[82:83]
	v_add_f64 v[192:193], v[66:67], -v[90:91]
	v_add_f64 v[172:173], v[48:49], v[44:45]
	v_mul_f64 v[118:119], v[194:195], s[44:45]
	v_fma_f64 v[124:125], v[176:177], s[22:23], -v[122:123]
	v_add_f64 v[128:129], v[128:129], v[132:133]
	s_mov_b32 s48, 0xeb564b22
	v_add_f64 v[150:151], v[100:101], -v[104:105]
	s_mov_b32 s21, 0xbfeec746
	s_mov_b32 s10, 0xc61f0d01
	v_mul_f64 v[60:61], v[154:155], s[36:37]
	v_add_f64 v[142:143], v[94:95], v[98:99]
	s_mov_b32 s15, 0x3fdc86fa
	v_fma_f64 v[70:71], s[16:17], v[144:145], v[68:69]
	v_add_f64 v[74:75], v[74:75], v[78:79]
	v_add_f64 v[190:191], v[94:95], -v[98:99]
	v_add_f64 v[170:171], v[64:65], v[88:89]
	v_mul_f64 v[86:87], v[192:193], s[26:27]
	v_fma_f64 v[120:121], v[172:173], s[18:19], -v[118:119]
	v_add_f64 v[124:125], v[124:125], v[128:129]
	v_add_f64 v[146:147], v[108:109], -v[112:113]
	s_mov_b32 s49, 0x3fefdd0d
	s_mov_b32 s6, 0x3259b75e
	v_mul_f64 v[58:59], v[150:151], s[20:21]
	v_add_f64 v[140:141], v[102:103], v[106:107]
	s_mov_b32 s11, 0xbfd183b1
	v_fma_f64 v[62:63], s[14:15], v[142:143], v[60:61]
	v_add_f64 v[70:71], v[70:71], v[74:75]
	v_add_f64 v[188:189], v[102:103], -v[106:107]
	v_add_f64 v[168:169], v[92:93], v[96:97]
	v_mul_f64 v[78:79], v[190:191], s[36:37]
	v_fma_f64 v[116:117], v[170:171], s[16:17], -v[86:87]
	v_add_f64 v[120:121], v[120:121], v[124:125]
	v_mul_f64 v[56:57], v[146:147], s[48:49]
	v_add_f64 v[138:139], v[110:111], v[114:115]
	s_mov_b32 s7, 0x3fb79ee6
	v_fma_f64 v[54:55], s[10:11], v[140:141], v[58:59]
	v_add_f64 v[62:63], v[62:63], v[70:71]
	v_add_f64 v[186:187], v[110:111], -v[114:115]
	v_add_f64 v[166:167], v[100:101], v[104:105]
	v_mul_f64 v[70:71], v[188:189], s[20:21]
	v_fma_f64 v[82:83], v[168:169], s[14:15], -v[78:79]
	v_add_f64 v[116:117], v[116:117], v[120:121]
	v_fma_f64 v[52:53], s[6:7], v[138:139], v[56:57]
	v_add_f64 v[54:55], v[54:55], v[62:63]
	v_add_f64 v[164:165], v[108:109], v[112:113]
	v_mul_f64 v[62:63], v[186:187], s[48:49]
	v_fma_f64 v[74:75], v[166:167], s[10:11], -v[70:71]
	v_add_f64 v[82:83], v[82:83], v[116:117]
	v_add_f64 v[54:55], v[52:53], v[54:55]
	v_fma_f64 v[52:53], v[164:165], s[6:7], -v[62:63]
	v_add_f64 v[74:75], v[74:75], v[82:83]
	v_add_f64 v[52:53], v[52:53], v[74:75]
	v_fma_f64 v[74:75], v[152:153], s[22:23], -v[76:77]
	v_fma_f64 v[76:77], v[156:157], s[24:25], -v[80:81]
	;; [unrolled: 1-line block ×3, first 2 shown]
	v_add_f64 v[80:81], v[34:35], v[80:81]
	v_add_f64 v[76:77], v[76:77], v[80:81]
	v_fma_f64 v[72:73], v[148:149], s[18:19], -v[72:73]
	v_add_f64 v[74:75], v[74:75], v[76:77]
	v_fma_f64 v[68:69], v[144:145], s[16:17], -v[68:69]
	;; [unrolled: 2-line block ×5, first 2 shown]
	v_add_f64 v[58:59], v[58:59], v[60:61]
	v_fmac_f64_e32 v[130:131], s[28:29], v[180:181]
	v_add_f64 v[58:59], v[56:57], v[58:59]
	v_fmac_f64_e32 v[126:127], s[24:25], v[178:179]
	;; [unrolled: 2-line block ×3, first 2 shown]
	v_add_f64 v[56:57], v[126:127], v[56:57]
	v_mul_f64 v[120:121], v[184:185], s[30:31]
	v_fmac_f64_e32 v[118:119], s[18:19], v[172:173]
	v_add_f64 v[56:57], v[122:123], v[56:57]
	s_mov_b32 s43, 0xbfefdd0d
	s_mov_b32 s42, s48
	v_mul_f64 v[116:117], v[182:183], s[36:37]
	v_fma_f64 v[122:123], s[22:23], v[160:161], v[120:121]
	v_mul_f64 v[208:209], v[200:201], s[30:31]
	v_fmac_f64_e32 v[86:87], s[16:17], v[170:171]
	v_add_f64 v[56:57], v[118:119], v[56:57]
	s_mov_b32 s55, 0x3fe9895b
	s_mov_b32 s54, s26
	v_mul_f64 v[84:85], v[174:175], s[42:43]
	v_fma_f64 v[118:119], s[14:15], v[156:157], v[116:117]
	v_add_f64 v[122:123], v[34:35], v[122:123]
	v_mul_f64 v[134:135], v[198:199], s[36:37]
	v_fma_f64 v[210:211], v[180:181], s[22:23], -v[208:209]
	v_add_f64 v[56:57], v[86:87], v[56:57]
	s_mov_b32 s41, 0xbfd71e95
	s_mov_b32 s40, s38
	v_mul_f64 v[80:81], v[162:163], s[54:55]
	v_fma_f64 v[86:87], s[6:7], v[152:153], v[84:85]
	v_add_f64 v[118:119], v[118:119], v[122:123]
	v_mul_f64 v[130:131], v[196:197], s[42:43]
	v_fma_f64 v[206:207], v[178:179], s[14:15], -v[134:135]
	v_add_f64 v[210:211], v[32:33], v[210:211]
	v_fmac_f64_e32 v[78:79], s[14:15], v[168:169]
	v_mul_f64 v[76:77], v[158:159], s[40:41]
	v_fma_f64 v[82:83], s[16:17], v[148:149], v[80:81]
	v_add_f64 v[86:87], v[86:87], v[118:119]
	v_mul_f64 v[126:127], v[194:195], s[54:55]
	v_fma_f64 v[132:133], v[176:177], s[6:7], -v[130:131]
	v_add_f64 v[206:207], v[206:207], v[210:211]
	v_fmac_f64_e32 v[70:71], s[10:11], v[166:167]
	v_add_f64 v[56:57], v[78:79], v[56:57]
	v_mul_f64 v[72:73], v[154:155], s[34:35]
	v_fma_f64 v[78:79], s[24:25], v[144:145], v[76:77]
	v_add_f64 v[82:83], v[82:83], v[86:87]
	v_mul_f64 v[122:123], v[192:193], s[40:41]
	v_fma_f64 v[128:129], v[172:173], s[16:17], -v[126:127]
	v_add_f64 v[132:133], v[132:133], v[206:207]
	v_fmac_f64_e32 v[62:63], s[6:7], v[164:165]
	v_add_f64 v[56:57], v[70:71], v[56:57]
	v_mul_f64 v[70:71], v[150:151], s[44:45]
	v_fma_f64 v[74:75], s[28:29], v[142:143], v[72:73]
	v_add_f64 v[78:79], v[78:79], v[82:83]
	v_mul_f64 v[86:87], v[190:191], s[34:35]
	v_fma_f64 v[124:125], v[170:171], s[24:25], -v[122:123]
	v_add_f64 v[128:129], v[128:129], v[132:133]
	v_add_f64 v[56:57], v[62:63], v[56:57]
	v_mul_f64 v[68:69], v[146:147], s[20:21]
	v_fma_f64 v[62:63], s[18:19], v[140:141], v[70:71]
	v_add_f64 v[74:75], v[74:75], v[78:79]
	v_mul_f64 v[78:79], v[188:189], s[44:45]
	v_fma_f64 v[118:119], v[168:169], s[28:29], -v[86:87]
	v_add_f64 v[124:125], v[124:125], v[128:129]
	v_fma_f64 v[60:61], s[10:11], v[138:139], v[68:69]
	v_add_f64 v[62:63], v[62:63], v[74:75]
	v_mul_f64 v[74:75], v[186:187], s[20:21]
	v_fma_f64 v[82:83], v[166:167], s[18:19], -v[78:79]
	v_add_f64 v[118:119], v[118:119], v[124:125]
	v_add_f64 v[62:63], v[60:61], v[62:63]
	v_fma_f64 v[60:61], v[164:165], s[10:11], -v[74:75]
	v_add_f64 v[82:83], v[82:83], v[118:119]
	v_add_f64 v[60:61], v[60:61], v[82:83]
	v_fma_f64 v[82:83], v[152:153], s[6:7], -v[84:85]
	v_fma_f64 v[84:85], v[156:157], s[14:15], -v[116:117]
	;; [unrolled: 1-line block ×3, first 2 shown]
	v_add_f64 v[116:117], v[34:35], v[116:117]
	v_add_f64 v[84:85], v[84:85], v[116:117]
	v_fma_f64 v[80:81], v[148:149], s[16:17], -v[80:81]
	v_add_f64 v[82:83], v[82:83], v[84:85]
	v_fma_f64 v[76:77], v[144:145], s[24:25], -v[76:77]
	;; [unrolled: 2-line block ×5, first 2 shown]
	v_add_f64 v[70:71], v[70:71], v[72:73]
	v_fmac_f64_e32 v[208:209], s[22:23], v[180:181]
	v_add_f64 v[70:71], v[68:69], v[70:71]
	v_fmac_f64_e32 v[134:135], s[14:15], v[178:179]
	;; [unrolled: 2-line block ×3, first 2 shown]
	v_add_f64 v[68:69], v[134:135], v[68:69]
	s_mov_b32 s53, 0x3feec746
	s_mov_b32 s52, s20
	v_mul_f64 v[128:129], v[184:185], s[26:27]
	v_fmac_f64_e32 v[126:127], s[16:17], v[172:173]
	v_add_f64 v[68:69], v[130:131], v[68:69]
	v_mul_f64 v[124:125], v[182:183], s[52:53]
	v_fma_f64 v[130:131], s[16:17], v[160:161], v[128:129]
	v_mul_f64 v[216:217], v[200:201], s[26:27]
	v_fmac_f64_e32 v[122:123], s[24:25], v[170:171]
	v_add_f64 v[68:69], v[126:127], v[68:69]
	v_mul_f64 v[120:121], v[174:175], s[40:41]
	v_fma_f64 v[126:127], s[10:11], v[156:157], v[124:125]
	v_add_f64 v[130:131], v[34:35], v[130:131]
	v_mul_f64 v[212:213], v[198:199], s[52:53]
	v_fma_f64 v[218:219], v[180:181], s[16:17], -v[216:217]
	v_add_f64 v[68:69], v[122:123], v[68:69]
	v_mul_f64 v[116:117], v[162:163], s[30:31]
	v_fma_f64 v[122:123], s[24:25], v[152:153], v[120:121]
	v_add_f64 v[126:127], v[126:127], v[130:131]
	v_mul_f64 v[208:209], v[196:197], s[40:41]
	v_fma_f64 v[214:215], v[178:179], s[10:11], -v[212:213]
	v_add_f64 v[218:219], v[32:33], v[218:219]
	v_fmac_f64_e32 v[86:87], s[28:29], v[168:169]
	s_mov_b32 s47, 0xbfe58eea
	s_mov_b32 s46, s44
	v_mul_f64 v[84:85], v[158:159], s[48:49]
	v_fma_f64 v[118:119], s[22:23], v[148:149], v[116:117]
	v_add_f64 v[122:123], v[122:123], v[126:127]
	v_mul_f64 v[134:135], v[194:195], s[30:31]
	v_fma_f64 v[210:211], v[176:177], s[24:25], -v[208:209]
	v_add_f64 v[214:215], v[214:215], v[218:219]
	v_fmac_f64_e32 v[78:79], s[18:19], v[166:167]
	v_add_f64 v[68:69], v[86:87], v[68:69]
	v_mul_f64 v[80:81], v[154:155], s[46:47]
	v_fma_f64 v[86:87], s[6:7], v[144:145], v[84:85]
	v_add_f64 v[118:119], v[118:119], v[122:123]
	v_mul_f64 v[130:131], v[192:193], s[48:49]
	v_fma_f64 v[206:207], v[172:173], s[22:23], -v[134:135]
	v_add_f64 v[210:211], v[210:211], v[214:215]
	v_fmac_f64_e32 v[74:75], s[10:11], v[164:165]
	v_add_f64 v[68:69], v[78:79], v[68:69]
	v_mul_f64 v[78:79], v[150:151], s[34:35]
	v_fma_f64 v[82:83], s[18:19], v[142:143], v[80:81]
	v_add_f64 v[86:87], v[86:87], v[118:119]
	v_mul_f64 v[122:123], v[190:191], s[46:47]
	v_fma_f64 v[132:133], v[170:171], s[6:7], -v[130:131]
	v_add_f64 v[206:207], v[206:207], v[210:211]
	v_add_f64 v[68:69], v[74:75], v[68:69]
	v_mul_f64 v[76:77], v[146:147], s[36:37]
	v_fma_f64 v[74:75], s[28:29], v[140:141], v[78:79]
	v_add_f64 v[82:83], v[82:83], v[86:87]
	v_mul_f64 v[86:87], v[188:189], s[34:35]
	v_fma_f64 v[126:127], v[168:169], s[18:19], -v[122:123]
	v_add_f64 v[132:133], v[132:133], v[206:207]
	v_fma_f64 v[72:73], s[14:15], v[138:139], v[76:77]
	v_add_f64 v[74:75], v[74:75], v[82:83]
	v_mul_f64 v[82:83], v[186:187], s[36:37]
	v_fma_f64 v[118:119], v[166:167], s[28:29], -v[86:87]
	v_add_f64 v[126:127], v[126:127], v[132:133]
	v_add_f64 v[74:75], v[72:73], v[74:75]
	v_fma_f64 v[72:73], v[164:165], s[14:15], -v[82:83]
	v_add_f64 v[118:119], v[118:119], v[126:127]
	v_add_f64 v[72:73], v[72:73], v[118:119]
	v_fma_f64 v[118:119], v[152:153], s[24:25], -v[120:121]
	v_fma_f64 v[120:121], v[156:157], s[10:11], -v[124:125]
	;; [unrolled: 1-line block ×3, first 2 shown]
	v_add_f64 v[124:125], v[34:35], v[124:125]
	v_add_f64 v[120:121], v[120:121], v[124:125]
	v_fma_f64 v[116:117], v[148:149], s[22:23], -v[116:117]
	v_add_f64 v[118:119], v[118:119], v[120:121]
	v_fma_f64 v[84:85], v[144:145], s[6:7], -v[84:85]
	;; [unrolled: 2-line block ×5, first 2 shown]
	v_add_f64 v[78:79], v[78:79], v[80:81]
	v_fmac_f64_e32 v[216:217], s[16:17], v[180:181]
	v_add_f64 v[78:79], v[76:77], v[78:79]
	v_fmac_f64_e32 v[212:213], s[10:11], v[178:179]
	;; [unrolled: 2-line block ×3, first 2 shown]
	v_add_f64 v[76:77], v[212:213], v[76:77]
	s_mov_b32 s57, 0x3fe0d888
	s_mov_b32 s56, s30
	v_mul_f64 v[206:207], v[184:185], s[20:21]
	v_fmac_f64_e32 v[134:135], s[22:23], v[172:173]
	v_add_f64 v[76:77], v[208:209], v[76:77]
	v_mul_f64 v[132:133], v[182:183], s[56:57]
	v_fma_f64 v[208:209], s[10:11], v[160:161], v[206:207]
	v_mul_f64 v[224:225], v[200:201], s[20:21]
	v_fmac_f64_e32 v[130:131], s[6:7], v[170:171]
	v_add_f64 v[76:77], v[134:135], v[76:77]
	s_mov_b32 s51, 0xbfeca52d
	s_mov_b32 s50, s36
	v_mul_f64 v[128:129], v[174:175], s[44:45]
	v_fma_f64 v[134:135], s[22:23], v[156:157], v[132:133]
	v_add_f64 v[208:209], v[34:35], v[208:209]
	v_mul_f64 v[220:221], v[198:199], s[56:57]
	v_fma_f64 v[226:227], v[180:181], s[10:11], -v[224:225]
	v_add_f64 v[76:77], v[130:131], v[76:77]
	v_mul_f64 v[124:125], v[162:163], s[50:51]
	v_fma_f64 v[130:131], s[18:19], v[152:153], v[128:129]
	v_add_f64 v[134:135], v[134:135], v[208:209]
	v_mul_f64 v[216:217], v[196:197], s[44:45]
	v_fma_f64 v[222:223], v[178:179], s[22:23], -v[220:221]
	v_add_f64 v[226:227], v[32:33], v[226:227]
	v_fmac_f64_e32 v[122:123], s[18:19], v[168:169]
	v_mul_f64 v[120:121], v[158:159], s[34:35]
	v_fma_f64 v[126:127], s[14:15], v[148:149], v[124:125]
	v_add_f64 v[130:131], v[130:131], v[134:135]
	v_mul_f64 v[212:213], v[194:195], s[50:51]
	v_fma_f64 v[218:219], v[176:177], s[18:19], -v[216:217]
	v_add_f64 v[222:223], v[222:223], v[226:227]
	v_fmac_f64_e32 v[86:87], s[28:29], v[166:167]
	v_add_f64 v[76:77], v[122:123], v[76:77]
	v_mul_f64 v[116:117], v[154:155], s[48:49]
	v_fma_f64 v[122:123], s[28:29], v[144:145], v[120:121]
	v_add_f64 v[126:127], v[126:127], v[130:131]
	v_mul_f64 v[208:209], v[192:193], s[34:35]
	v_fma_f64 v[214:215], v[172:173], s[14:15], -v[212:213]
	v_add_f64 v[218:219], v[218:219], v[222:223]
	v_fmac_f64_e32 v[82:83], s[14:15], v[164:165]
	v_add_f64 v[76:77], v[86:87], v[76:77]
	v_mul_f64 v[86:87], v[150:151], s[40:41]
	v_fma_f64 v[118:119], s[6:7], v[142:143], v[116:117]
	v_add_f64 v[122:123], v[122:123], v[126:127]
	v_mul_f64 v[130:131], v[190:191], s[48:49]
	v_fma_f64 v[210:211], v[170:171], s[28:29], -v[208:209]
	v_add_f64 v[214:215], v[214:215], v[218:219]
	v_add_f64 v[76:77], v[82:83], v[76:77]
	v_mul_f64 v[84:85], v[146:147], s[26:27]
	v_fma_f64 v[82:83], s[24:25], v[140:141], v[86:87]
	v_add_f64 v[118:119], v[118:119], v[122:123]
	v_mul_f64 v[122:123], v[188:189], s[40:41]
	v_fma_f64 v[134:135], v[168:169], s[6:7], -v[130:131]
	v_add_f64 v[210:211], v[210:211], v[214:215]
	v_fma_f64 v[80:81], s[16:17], v[138:139], v[84:85]
	v_add_f64 v[82:83], v[82:83], v[118:119]
	v_mul_f64 v[118:119], v[186:187], s[26:27]
	v_fma_f64 v[126:127], v[166:167], s[24:25], -v[122:123]
	v_add_f64 v[134:135], v[134:135], v[210:211]
	v_add_f64 v[82:83], v[80:81], v[82:83]
	v_fma_f64 v[80:81], v[164:165], s[16:17], -v[118:119]
	v_add_f64 v[126:127], v[126:127], v[134:135]
	v_add_f64 v[80:81], v[80:81], v[126:127]
	v_fma_f64 v[126:127], v[152:153], s[18:19], -v[128:129]
	v_fma_f64 v[128:129], v[156:157], s[22:23], -v[132:133]
	;; [unrolled: 1-line block ×3, first 2 shown]
	v_add_f64 v[132:133], v[34:35], v[132:133]
	v_add_f64 v[128:129], v[128:129], v[132:133]
	v_fma_f64 v[124:125], v[148:149], s[14:15], -v[124:125]
	v_add_f64 v[126:127], v[126:127], v[128:129]
	v_fma_f64 v[120:121], v[144:145], s[28:29], -v[120:121]
	;; [unrolled: 2-line block ×5, first 2 shown]
	v_add_f64 v[86:87], v[86:87], v[116:117]
	v_fmac_f64_e32 v[224:225], s[10:11], v[180:181]
	v_add_f64 v[86:87], v[84:85], v[86:87]
	v_fmac_f64_e32 v[220:221], s[22:23], v[178:179]
	;; [unrolled: 2-line block ×3, first 2 shown]
	v_add_f64 v[84:85], v[220:221], v[84:85]
	v_mul_f64 v[214:215], v[184:185], s[42:43]
	v_fmac_f64_e32 v[212:213], s[14:15], v[172:173]
	v_add_f64 v[84:85], v[216:217], v[84:85]
	v_mul_f64 v[210:211], v[182:183], s[34:35]
	v_fma_f64 v[216:217], s[6:7], v[160:161], v[214:215]
	v_mul_f64 v[232:233], v[200:201], s[42:43]
	v_fmac_f64_e32 v[208:209], s[28:29], v[170:171]
	v_add_f64 v[84:85], v[212:213], v[84:85]
	v_mul_f64 v[206:207], v[174:175], s[52:53]
	v_fma_f64 v[212:213], s[28:29], v[156:157], v[210:211]
	v_add_f64 v[216:217], v[34:35], v[216:217]
	v_mul_f64 v[228:229], v[198:199], s[34:35]
	v_fma_f64 v[234:235], v[180:181], s[6:7], -v[232:233]
	v_add_f64 v[84:85], v[208:209], v[84:85]
	v_mul_f64 v[132:133], v[162:163], s[38:39]
	v_fma_f64 v[208:209], s[10:11], v[152:153], v[206:207]
	v_add_f64 v[212:213], v[212:213], v[216:217]
	v_mul_f64 v[224:225], v[196:197], s[52:53]
	v_fma_f64 v[230:231], v[178:179], s[28:29], -v[228:229]
	v_add_f64 v[234:235], v[32:33], v[234:235]
	v_fmac_f64_e32 v[130:131], s[6:7], v[168:169]
	v_mul_f64 v[128:129], v[158:159], s[50:51]
	v_fma_f64 v[134:135], s[24:25], v[148:149], v[132:133]
	v_add_f64 v[208:209], v[208:209], v[212:213]
	v_mul_f64 v[220:221], v[194:195], s[38:39]
	v_fma_f64 v[226:227], v[176:177], s[10:11], -v[224:225]
	v_add_f64 v[230:231], v[230:231], v[234:235]
	v_fmac_f64_e32 v[122:123], s[24:25], v[166:167]
	v_add_f64 v[84:85], v[130:131], v[84:85]
	v_mul_f64 v[124:125], v[154:155], s[30:31]
	v_fma_f64 v[130:131], s[14:15], v[144:145], v[128:129]
	v_add_f64 v[134:135], v[134:135], v[208:209]
	v_mul_f64 v[216:217], v[192:193], s[50:51]
	v_fma_f64 v[222:223], v[172:173], s[24:25], -v[220:221]
	v_add_f64 v[226:227], v[226:227], v[230:231]
	v_fmac_f64_e32 v[118:119], s[16:17], v[164:165]
	v_add_f64 v[84:85], v[122:123], v[84:85]
	v_mul_f64 v[122:123], v[150:151], s[54:55]
	v_fma_f64 v[126:127], s[22:23], v[142:143], v[124:125]
	v_add_f64 v[130:131], v[130:131], v[134:135]
	v_mul_f64 v[208:209], v[190:191], s[30:31]
	v_fma_f64 v[218:219], v[170:171], s[14:15], -v[216:217]
	v_add_f64 v[222:223], v[222:223], v[226:227]
	v_add_f64 v[84:85], v[118:119], v[84:85]
	v_mul_f64 v[120:121], v[146:147], s[44:45]
	v_fma_f64 v[118:119], s[16:17], v[140:141], v[122:123]
	v_add_f64 v[126:127], v[126:127], v[130:131]
	v_mul_f64 v[130:131], v[188:189], s[54:55]
	v_fma_f64 v[212:213], v[168:169], s[22:23], -v[208:209]
	v_add_f64 v[218:219], v[218:219], v[222:223]
	v_fma_f64 v[116:117], s[18:19], v[138:139], v[120:121]
	v_add_f64 v[118:119], v[118:119], v[126:127]
	v_mul_f64 v[126:127], v[186:187], s[44:45]
	v_fma_f64 v[134:135], v[166:167], s[16:17], -v[130:131]
	v_add_f64 v[212:213], v[212:213], v[218:219]
	v_add_f64 v[118:119], v[116:117], v[118:119]
	v_fma_f64 v[116:117], v[164:165], s[18:19], -v[126:127]
	v_add_f64 v[134:135], v[134:135], v[212:213]
	v_add_f64 v[116:117], v[116:117], v[134:135]
	v_fma_f64 v[134:135], v[152:153], s[10:11], -v[206:207]
	v_fma_f64 v[206:207], v[156:157], s[28:29], -v[210:211]
	;; [unrolled: 1-line block ×3, first 2 shown]
	v_add_f64 v[210:211], v[34:35], v[210:211]
	v_add_f64 v[206:207], v[206:207], v[210:211]
	v_fma_f64 v[132:133], v[148:149], s[24:25], -v[132:133]
	v_add_f64 v[134:135], v[134:135], v[206:207]
	v_fma_f64 v[128:129], v[144:145], s[14:15], -v[128:129]
	;; [unrolled: 2-line block ×5, first 2 shown]
	v_add_f64 v[122:123], v[122:123], v[124:125]
	v_fmac_f64_e32 v[232:233], s[6:7], v[180:181]
	v_add_f64 v[122:123], v[120:121], v[122:123]
	v_fmac_f64_e32 v[228:229], s[28:29], v[178:179]
	;; [unrolled: 2-line block ×3, first 2 shown]
	v_add_f64 v[120:121], v[228:229], v[120:121]
	v_mul_f64 v[222:223], v[184:185], s[50:51]
	v_fmac_f64_e32 v[220:221], s[24:25], v[172:173]
	v_add_f64 v[120:121], v[224:225], v[120:121]
	s_mov_b32 s49, 0x3fc7851a
	s_mov_b32 s48, s34
	v_mul_f64 v[218:219], v[182:183], s[26:27]
	v_fma_f64 v[224:225], s[14:15], v[160:161], v[222:223]
	v_mul_f64 v[240:241], v[200:201], s[50:51]
	v_fmac_f64_e32 v[216:217], s[14:15], v[170:171]
	v_add_f64 v[120:121], v[220:221], v[120:121]
	v_mul_f64 v[214:215], v[174:175], s[48:49]
	v_fma_f64 v[220:221], s[16:17], v[156:157], v[218:219]
	v_add_f64 v[224:225], v[34:35], v[224:225]
	v_mul_f64 v[236:237], v[198:199], s[26:27]
	v_fma_f64 v[242:243], v[180:181], s[14:15], -v[240:241]
	v_add_f64 v[120:121], v[216:217], v[120:121]
	v_mul_f64 v[210:211], v[162:163], s[52:53]
	v_fma_f64 v[216:217], s[28:29], v[152:153], v[214:215]
	v_add_f64 v[220:221], v[220:221], v[224:225]
	v_mul_f64 v[232:233], v[196:197], s[48:49]
	v_fma_f64 v[238:239], v[178:179], s[16:17], -v[236:237]
	v_add_f64 v[242:243], v[32:33], v[242:243]
	v_fmac_f64_e32 v[208:209], s[22:23], v[168:169]
	v_mul_f64 v[206:207], v[158:159], s[44:45]
	v_fma_f64 v[212:213], s[10:11], v[148:149], v[210:211]
	v_add_f64 v[216:217], v[216:217], v[220:221]
	v_mul_f64 v[228:229], v[194:195], s[52:53]
	v_fma_f64 v[234:235], v[176:177], s[28:29], -v[232:233]
	v_add_f64 v[238:239], v[238:239], v[242:243]
	v_fmac_f64_e32 v[130:131], s[16:17], v[166:167]
	v_add_f64 v[120:121], v[208:209], v[120:121]
	v_mul_f64 v[132:133], v[154:155], s[40:41]
	v_fma_f64 v[208:209], s[18:19], v[144:145], v[206:207]
	v_add_f64 v[212:213], v[212:213], v[216:217]
	v_mul_f64 v[224:225], v[192:193], s[44:45]
	v_fma_f64 v[230:231], v[172:173], s[10:11], -v[228:229]
	v_add_f64 v[234:235], v[234:235], v[238:239]
	v_fmac_f64_e32 v[126:127], s[18:19], v[164:165]
	v_add_f64 v[120:121], v[130:131], v[120:121]
	v_mul_f64 v[130:131], v[150:151], s[42:43]
	v_fma_f64 v[134:135], s[24:25], v[142:143], v[132:133]
	v_add_f64 v[208:209], v[208:209], v[212:213]
	v_mul_f64 v[216:217], v[190:191], s[40:41]
	v_fma_f64 v[226:227], v[170:171], s[18:19], -v[224:225]
	v_add_f64 v[230:231], v[230:231], v[234:235]
	v_add_f64 v[120:121], v[126:127], v[120:121]
	v_mul_f64 v[128:129], v[146:147], s[30:31]
	v_fma_f64 v[126:127], s[6:7], v[140:141], v[130:131]
	v_add_f64 v[134:135], v[134:135], v[208:209]
	v_mul_f64 v[212:213], v[188:189], s[42:43]
	v_fma_f64 v[220:221], v[168:169], s[24:25], -v[216:217]
	v_add_f64 v[226:227], v[226:227], v[230:231]
	v_fma_f64 v[124:125], s[22:23], v[138:139], v[128:129]
	v_add_f64 v[126:127], v[126:127], v[134:135]
	v_mul_f64 v[208:209], v[186:187], s[30:31]
	v_fma_f64 v[134:135], v[166:167], s[6:7], -v[212:213]
	v_add_f64 v[220:221], v[220:221], v[226:227]
	v_add_f64 v[126:127], v[124:125], v[126:127]
	v_fma_f64 v[124:125], v[164:165], s[22:23], -v[208:209]
	v_add_f64 v[134:135], v[134:135], v[220:221]
	v_add_f64 v[124:125], v[124:125], v[134:135]
	v_fma_f64 v[134:135], v[144:145], s[18:19], -v[206:207]
	v_fma_f64 v[206:207], v[148:149], s[10:11], -v[210:211]
	;; [unrolled: 1-line block ×5, first 2 shown]
	v_add_f64 v[218:219], v[34:35], v[218:219]
	v_add_f64 v[214:215], v[214:215], v[218:219]
	;; [unrolled: 1-line block ×4, first 2 shown]
	v_fma_f64 v[132:133], v[142:143], s[24:25], -v[132:133]
	v_add_f64 v[134:135], v[134:135], v[206:207]
	v_fma_f64 v[130:131], v[140:141], s[6:7], -v[130:131]
	v_add_f64 v[132:133], v[132:133], v[134:135]
	v_fma_f64 v[128:129], v[138:139], s[22:23], -v[128:129]
	v_add_f64 v[130:131], v[130:131], v[132:133]
	v_fmac_f64_e32 v[240:241], s[14:15], v[180:181]
	v_add_f64 v[134:135], v[128:129], v[130:131]
	v_fmac_f64_e32 v[236:237], s[16:17], v[178:179]
	v_add_f64 v[128:129], v[32:33], v[240:241]
	;; [unrolled: 2-line block ×3, first 2 shown]
	v_mul_f64 v[230:231], v[184:185], s[46:47]
	v_fmac_f64_e32 v[228:229], s[10:11], v[172:173]
	v_add_f64 v[128:129], v[232:233], v[128:129]
	v_mul_f64 v[226:227], v[182:183], s[42:43]
	v_fma_f64 v[232:233], s[18:19], v[160:161], v[230:231]
	v_mul_f64 v[248:249], v[200:201], s[46:47]
	v_fmac_f64_e32 v[224:225], s[18:19], v[170:171]
	v_add_f64 v[128:129], v[228:229], v[128:129]
	v_mul_f64 v[222:223], v[174:175], s[26:27]
	v_fma_f64 v[228:229], s[6:7], v[156:157], v[226:227]
	v_add_f64 v[232:233], v[34:35], v[232:233]
	v_mul_f64 v[244:245], v[198:199], s[42:43]
	v_fma_f64 v[250:251], v[180:181], s[18:19], -v[248:249]
	v_fmac_f64_e32 v[216:217], s[24:25], v[168:169]
	v_add_f64 v[128:129], v[224:225], v[128:129]
	v_mul_f64 v[218:219], v[162:163], s[34:35]
	v_fma_f64 v[224:225], s[16:17], v[152:153], v[222:223]
	v_add_f64 v[228:229], v[228:229], v[232:233]
	v_mul_f64 v[240:241], v[196:197], s[26:27]
	v_fma_f64 v[246:247], v[178:179], s[6:7], -v[244:245]
	v_add_f64 v[250:251], v[32:33], v[250:251]
	v_fmac_f64_e32 v[212:213], s[6:7], v[166:167]
	v_add_f64 v[128:129], v[216:217], v[128:129]
	v_mul_f64 v[214:215], v[158:159], s[56:57]
	v_fma_f64 v[220:221], s[28:29], v[148:149], v[218:219]
	v_add_f64 v[224:225], v[224:225], v[228:229]
	v_mul_f64 v[236:237], v[194:195], s[34:35]
	v_fma_f64 v[242:243], v[176:177], s[16:17], -v[240:241]
	v_add_f64 v[246:247], v[246:247], v[250:251]
	;; [unrolled: 8-line block ×3, first 2 shown]
	v_add_f64 v[132:133], v[208:209], v[128:129]
	v_mul_f64 v[208:209], v[150:151], s[36:37]
	v_fma_f64 v[212:213], s[10:11], v[142:143], v[210:211]
	v_add_f64 v[216:217], v[216:217], v[220:221]
	v_mul_f64 v[224:225], v[190:191], s[52:53]
	v_fma_f64 v[234:235], v[170:171], s[22:23], -v[232:233]
	v_add_f64 v[238:239], v[238:239], v[242:243]
	v_mul_f64 v[206:207], v[146:147], s[38:39]
	v_fma_f64 v[130:131], s[14:15], v[140:141], v[208:209]
	v_add_f64 v[212:213], v[212:213], v[216:217]
	v_mul_f64 v[216:217], v[188:189], s[36:37]
	v_fma_f64 v[228:229], v[168:169], s[10:11], -v[224:225]
	v_add_f64 v[234:235], v[234:235], v[238:239]
	v_fma_f64 v[128:129], s[24:25], v[138:139], v[206:207]
	v_add_f64 v[130:131], v[130:131], v[212:213]
	v_mul_f64 v[212:213], v[186:187], s[38:39]
	v_fma_f64 v[220:221], v[166:167], s[14:15], -v[216:217]
	v_add_f64 v[228:229], v[228:229], v[234:235]
	v_add_f64 v[130:131], v[128:129], v[130:131]
	v_fma_f64 v[128:129], v[164:165], s[24:25], -v[212:213]
	v_add_f64 v[220:221], v[220:221], v[228:229]
	v_add_f64 v[128:129], v[128:129], v[220:221]
	v_fma_f64 v[220:221], v[152:153], s[16:17], -v[222:223]
	v_fma_f64 v[222:223], v[156:157], s[6:7], -v[226:227]
	;; [unrolled: 1-line block ×3, first 2 shown]
	v_add_f64 v[226:227], v[34:35], v[226:227]
	v_add_f64 v[222:223], v[222:223], v[226:227]
	v_fma_f64 v[218:219], v[148:149], s[28:29], -v[218:219]
	v_add_f64 v[220:221], v[220:221], v[222:223]
	v_fma_f64 v[214:215], v[144:145], s[22:23], -v[214:215]
	;; [unrolled: 2-line block ×5, first 2 shown]
	v_add_f64 v[208:209], v[208:209], v[210:211]
	v_fmac_f64_e32 v[248:249], s[18:19], v[180:181]
	v_add_f64 v[208:209], v[206:207], v[208:209]
	v_fmac_f64_e32 v[244:245], s[6:7], v[178:179]
	;; [unrolled: 2-line block ×6, first 2 shown]
	v_add_f64 v[206:207], v[232:233], v[206:207]
	v_add_f64 v[206:207], v[224:225], v[206:207]
	v_mul_f64 v[146:147], v[146:147], s[34:35]
	v_mul_f64 v[162:163], v[162:163], s[42:43]
	;; [unrolled: 1-line block ×4, first 2 shown]
	v_fma_f64 v[210:211], s[28:29], v[138:139], v[146:147]
	v_fma_f64 v[218:219], s[6:7], v[148:149], v[162:163]
	;; [unrolled: 1-line block ×4, first 2 shown]
	v_fma_f64 v[138:139], v[138:139], s[28:29], -v[146:147]
	v_fma_f64 v[146:147], v[148:149], s[6:7], -v[162:163]
	;; [unrolled: 1-line block ×4, first 2 shown]
	v_add_f64 v[184:185], v[34:35], v[184:185]
	v_add_f64 v[152:153], v[34:35], v[152:153]
	;; [unrolled: 1-line block ×19, first 2 shown]
	v_fmac_f64_e32 v[216:217], s[14:15], v[166:167]
	v_add_f64 v[6:7], v[40:41], v[6:7]
	v_fmac_f64_e32 v[212:213], s[24:25], v[164:165]
	v_add_f64 v[206:207], v[216:217], v[206:207]
	v_mul_f64 v[150:151], v[150:151], s[30:31]
	v_mul_f64 v[222:223], v[182:183], s[46:47]
	v_add_f64 v[6:7], v[28:29], v[6:7]
	v_add_f64 v[206:207], v[212:213], v[206:207]
	v_fma_f64 v[212:213], s[22:23], v[140:141], v[150:151]
	v_fma_f64 v[140:141], v[140:141], s[22:23], -v[150:151]
	v_fma_f64 v[150:151], v[156:157], s[18:19], -v[222:223]
	v_add_f64 v[6:7], v[48:49], v[6:7]
	v_add_f64 v[150:151], v[150:151], v[152:153]
	v_add_f64 v[6:7], v[64:65], v[6:7]
	v_mul_f64 v[158:159], v[158:159], s[20:21]
	v_add_f64 v[148:149], v[148:149], v[150:151]
	v_add_f64 v[6:7], v[92:93], v[6:7]
	v_mul_f64 v[154:155], v[154:155], s[26:27]
	v_fma_f64 v[216:217], s[10:11], v[144:145], v[158:159]
	v_fma_f64 v[144:145], v[144:145], s[10:11], -v[158:159]
	v_add_f64 v[146:147], v[146:147], v[148:149]
	v_add_f64 v[6:7], v[100:101], v[6:7]
	v_fma_f64 v[214:215], s[16:17], v[142:143], v[154:155]
	v_fma_f64 v[142:143], v[142:143], s[16:17], -v[154:155]
	v_add_f64 v[144:145], v[144:145], v[146:147]
	v_add_f64 v[6:7], v[108:109], v[6:7]
	v_fma_f64 v[182:183], s[18:19], v[156:157], v[222:223]
	v_mul_f64 v[200:201], v[200:201], s[40:41]
	v_add_f64 v[142:143], v[142:143], v[144:145]
	v_add_f64 v[6:7], v[112:113], v[6:7]
	v_add_f64 v[182:183], v[182:183], v[184:185]
	v_mul_f64 v[198:199], v[198:199], s[46:47]
	v_fma_f64 v[226:227], v[180:181], s[24:25], -v[200:201]
	v_add_f64 v[140:141], v[140:141], v[142:143]
	v_fmac_f64_e32 v[200:201], s[24:25], v[180:181]
	v_add_f64 v[6:7], v[104:105], v[6:7]
	v_add_f64 v[182:183], v[220:221], v[182:183]
	v_mul_f64 v[196:197], v[196:197], s[50:51]
	v_fma_f64 v[220:221], v[178:179], s[18:19], -v[198:199]
	v_add_f64 v[226:227], v[32:33], v[226:227]
	v_add_f64 v[140:141], v[138:139], v[140:141]
	v_fmac_f64_e32 v[198:199], s[18:19], v[178:179]
	v_add_f64 v[138:139], v[32:33], v[200:201]
	v_add_f64 v[6:7], v[96:97], v[6:7]
	v_add_f64 v[182:183], v[218:219], v[182:183]
	v_mul_f64 v[194:195], v[194:195], s[42:43]
	v_fma_f64 v[218:219], v[176:177], s[14:15], -v[196:197]
	v_add_f64 v[220:221], v[220:221], v[226:227]
	v_fmac_f64_e32 v[196:197], s[14:15], v[176:177]
	v_add_f64 v[138:139], v[198:199], v[138:139]
	v_add_f64 v[6:7], v[88:89], v[6:7]
	v_add_f64 v[182:183], v[216:217], v[182:183]
	v_mul_f64 v[192:193], v[192:193], s[20:21]
	v_fma_f64 v[216:217], v[172:173], s[6:7], -v[194:195]
	;; [unrolled: 7-line block ×5, first 2 shown]
	v_add_f64 v[212:213], v[212:213], v[214:215]
	v_fmac_f64_e32 v[188:189], s[22:23], v[166:167]
	v_add_f64 v[138:139], v[190:191], v[138:139]
	v_add_f64 v[0:1], v[4:5], v[0:1]
	v_accvgpr_read_b32 v4, a2
	v_fma_f64 v[182:183], v[164:165], s[28:29], -v[186:187]
	v_add_f64 v[210:211], v[210:211], v[212:213]
	v_fmac_f64_e32 v[186:187], s[28:29], v[164:165]
	v_add_f64 v[138:139], v[188:189], v[138:139]
	v_lshl_add_u32 v4, v203, 4, v4
	v_add_f64 v[182:183], v[182:183], v[210:211]
	v_add_f64 v[138:139], v[186:187], v[138:139]
	ds_write_b128 v4, v[0:3]
	ds_write_b128 v4, v[138:141] offset:16
	ds_write_b128 v4, v[206:209] offset:32
	;; [unrolled: 1-line block ×16, first 2 shown]
.LBB0_13:
	s_or_b64 exec, exec, s[4:5]
	s_waitcnt lgkmcnt(0)
	s_barrier
	ds_read_b128 v[0:3], v205 offset:272
	ds_read_b128 v[4:7], v205
	ds_read_b128 v[8:11], v205 offset:544
	ds_read_b128 v[28:31], v205 offset:816
	;; [unrolled: 1-line block ×3, first 2 shown]
	s_waitcnt lgkmcnt(4)
	v_mul_f64 v[36:37], v[26:27], v[2:3]
	v_fmac_f64_e32 v[36:37], v[24:25], v[0:1]
	v_mul_f64 v[0:1], v[26:27], v[0:1]
	v_fma_f64 v[24:25], v[24:25], v[2:3], -v[0:1]
	s_waitcnt lgkmcnt(2)
	v_mul_f64 v[26:27], v[22:23], v[10:11]
	v_mul_f64 v[0:1], v[22:23], v[8:9]
	v_fmac_f64_e32 v[26:27], v[20:21], v[8:9]
	v_fma_f64 v[20:21], v[20:21], v[10:11], -v[0:1]
	s_waitcnt lgkmcnt(1)
	v_mul_f64 v[22:23], v[18:19], v[30:31]
	v_mul_f64 v[0:1], v[18:19], v[28:29]
	v_fmac_f64_e32 v[22:23], v[16:17], v[28:29]
	v_fma_f64 v[28:29], v[16:17], v[30:31], -v[0:1]
	s_waitcnt lgkmcnt(0)
	v_mul_f64 v[0:1], v[14:15], v[32:33]
	v_mul_f64 v[18:19], v[14:15], v[34:35]
	v_fma_f64 v[30:31], v[12:13], v[34:35], -v[0:1]
	v_add_f64 v[2:3], v[26:27], v[22:23]
	s_mov_b32 s4, 0x134454ff
	v_fmac_f64_e32 v[18:19], v[12:13], v[32:33]
	v_fma_f64 v[8:9], -0.5, v[2:3], v[4:5]
	v_add_f64 v[2:3], v[24:25], -v[30:31]
	s_mov_b32 s5, 0xbfee6f0e
	s_mov_b32 s6, 0x4755a5e
	;; [unrolled: 1-line block ×4, first 2 shown]
	v_fma_f64 v[12:13], s[4:5], v[2:3], v[8:9]
	v_add_f64 v[10:11], v[20:21], -v[28:29]
	s_mov_b32 s7, 0xbfe2cf23
	v_add_f64 v[14:15], v[36:37], -v[26:27]
	v_add_f64 v[16:17], v[18:19], -v[22:23]
	s_mov_b32 s10, 0x372fe950
	v_fmac_f64_e32 v[8:9], s[14:15], v[2:3]
	s_mov_b32 s17, 0x3fe2cf23
	s_mov_b32 s16, s6
	v_fmac_f64_e32 v[12:13], s[6:7], v[10:11]
	v_add_f64 v[14:15], v[14:15], v[16:17]
	s_mov_b32 s11, 0x3fd3c6ef
	v_fmac_f64_e32 v[8:9], s[16:17], v[10:11]
	v_fmac_f64_e32 v[12:13], s[10:11], v[14:15]
	;; [unrolled: 1-line block ×3, first 2 shown]
	v_add_f64 v[14:15], v[36:37], v[18:19]
	v_add_f64 v[0:1], v[4:5], v[36:37]
	v_fmac_f64_e32 v[4:5], -0.5, v[14:15]
	v_add_f64 v[0:1], v[0:1], v[26:27]
	v_fma_f64 v[16:17], s[14:15], v[10:11], v[4:5]
	v_add_f64 v[14:15], v[26:27], -v[36:37]
	v_add_f64 v[32:33], v[22:23], -v[18:19]
	v_fmac_f64_e32 v[4:5], s[4:5], v[10:11]
	v_add_f64 v[10:11], v[20:21], v[28:29]
	v_add_f64 v[0:1], v[0:1], v[22:23]
	v_fmac_f64_e32 v[16:17], s[6:7], v[2:3]
	v_add_f64 v[14:15], v[14:15], v[32:33]
	v_fmac_f64_e32 v[4:5], s[16:17], v[2:3]
	v_fma_f64 v[10:11], -0.5, v[10:11], v[6:7]
	v_add_f64 v[32:33], v[36:37], -v[18:19]
	v_add_f64 v[0:1], v[0:1], v[18:19]
	v_fmac_f64_e32 v[16:17], s[10:11], v[14:15]
	v_fmac_f64_e32 v[4:5], s[10:11], v[14:15]
	v_fma_f64 v[14:15], s[14:15], v[32:33], v[10:11]
	v_add_f64 v[22:23], v[26:27], -v[22:23]
	v_add_f64 v[18:19], v[24:25], -v[20:21]
	;; [unrolled: 1-line block ×3, first 2 shown]
	v_fmac_f64_e32 v[10:11], s[4:5], v[32:33]
	v_fmac_f64_e32 v[14:15], s[16:17], v[22:23]
	v_add_f64 v[18:19], v[18:19], v[26:27]
	v_fmac_f64_e32 v[10:11], s[6:7], v[22:23]
	v_add_f64 v[2:3], v[6:7], v[24:25]
	v_fmac_f64_e32 v[14:15], s[10:11], v[18:19]
	v_fmac_f64_e32 v[10:11], s[10:11], v[18:19]
	v_add_f64 v[18:19], v[24:25], v[30:31]
	v_add_f64 v[2:3], v[2:3], v[20:21]
	v_fmac_f64_e32 v[6:7], -0.5, v[18:19]
	v_add_f64 v[2:3], v[2:3], v[28:29]
	v_fma_f64 v[18:19], s[4:5], v[22:23], v[6:7]
	v_add_f64 v[20:21], v[20:21], -v[24:25]
	v_add_f64 v[24:25], v[28:29], -v[30:31]
	v_fmac_f64_e32 v[6:7], s[14:15], v[22:23]
	v_add_f64 v[2:3], v[2:3], v[30:31]
	v_fmac_f64_e32 v[18:19], s[16:17], v[32:33]
	v_add_f64 v[20:21], v[20:21], v[24:25]
	v_fmac_f64_e32 v[6:7], s[6:7], v[32:33]
	v_fmac_f64_e32 v[18:19], s[10:11], v[20:21]
	v_fmac_f64_e32 v[6:7], s[10:11], v[20:21]
	ds_write_b128 v204, v[0:3]
	ds_write_b128 v204, v[12:15] offset:272
	ds_write_b128 v204, v[16:19] offset:544
	ds_write_b128 v204, v[4:7] offset:816
	ds_write_b128 v204, v[8:11] offset:1088
	s_waitcnt lgkmcnt(0)
	s_barrier
	s_and_b64 exec, exec, vcc
	s_cbranch_execz .LBB0_15
; %bb.14:
	global_load_dwordx4 v[4:7], v202, s[8:9]
	v_mad_u64_u32 v[16:17], s[4:5], s2, v136, 0
	v_accvgpr_read_b32 v2, a1
	v_mad_u64_u32 v[18:19], s[6:7], s0, v137, 0
	v_lshl_add_u32 v2, v2, 4, v202
	v_mov_b32_e32 v20, v17
	ds_read_b128 v[8:11], v204
	ds_read_b128 v[12:15], v2 offset:80
	v_mov_b32_e32 v22, v19
	v_mad_u64_u32 v[20:21], s[2:3], s3, v136, v[20:21]
	v_mov_b32_e32 v0, s12
	v_mov_b32_e32 v1, s13
	v_mad_u64_u32 v[22:23], s[2:3], s1, v137, v[22:23]
	v_mov_b32_e32 v17, v20
	v_mov_b32_e32 v19, v22
	v_lshl_add_u64 v[0:1], v[16:17], 4, v[0:1]
	s_mov_b32 s4, 0x18181818
	v_lshl_add_u64 v[16:17], v[18:19], 4, v[0:1]
	s_mov_b32 s5, 0x3f881818
	v_mov_b32_e32 v3, 0x50
	s_mul_i32 s2, s1, 0x50
	v_accvgpr_read_b32 v21, a0
	s_mul_i32 s3, s1, 0xa0
	s_waitcnt vmcnt(0) lgkmcnt(1)
	v_mul_f64 v[18:19], v[10:11], v[6:7]
	v_mul_f64 v[6:7], v[8:9], v[6:7]
	v_fmac_f64_e32 v[18:19], v[8:9], v[4:5]
	v_fma_f64 v[6:7], v[4:5], v[10:11], -v[6:7]
	v_mul_f64 v[4:5], v[18:19], s[4:5]
	v_mul_f64 v[6:7], v[6:7], s[4:5]
	global_store_dwordx4 v[16:17], v[4:7], off
	global_load_dwordx4 v[4:7], v202, s[8:9] offset:80
	v_mad_u64_u32 v[16:17], s[6:7], s0, v3, v[16:17]
	v_add_u32_e32 v17, s2, v17
	s_waitcnt vmcnt(0) lgkmcnt(0)
	v_mul_f64 v[8:9], v[14:15], v[6:7]
	v_mul_f64 v[6:7], v[12:13], v[6:7]
	v_fmac_f64_e32 v[8:9], v[12:13], v[4:5]
	v_fma_f64 v[6:7], v[4:5], v[14:15], -v[6:7]
	v_mul_f64 v[4:5], v[8:9], s[4:5]
	v_mul_f64 v[6:7], v[6:7], s[4:5]
	global_store_dwordx4 v[16:17], v[4:7], off
	global_load_dwordx4 v[4:7], v202, s[8:9] offset:160
	ds_read_b128 v[8:11], v2 offset:160
	ds_read_b128 v[12:15], v2 offset:240
	v_mad_u64_u32 v[16:17], s[6:7], s0, v3, v[16:17]
	v_add_u32_e32 v17, s2, v17
	s_waitcnt vmcnt(0) lgkmcnt(1)
	v_mul_f64 v[18:19], v[10:11], v[6:7]
	v_mul_f64 v[6:7], v[8:9], v[6:7]
	v_fmac_f64_e32 v[18:19], v[8:9], v[4:5]
	v_fma_f64 v[6:7], v[4:5], v[10:11], -v[6:7]
	v_mul_f64 v[4:5], v[18:19], s[4:5]
	v_mul_f64 v[6:7], v[6:7], s[4:5]
	global_store_dwordx4 v[16:17], v[4:7], off
	global_load_dwordx4 v[4:7], v202, s[8:9] offset:240
	v_mad_u64_u32 v[16:17], s[6:7], s0, v3, v[16:17]
	v_add_u32_e32 v17, s2, v17
	s_waitcnt vmcnt(0) lgkmcnt(0)
	v_mul_f64 v[8:9], v[14:15], v[6:7]
	v_mul_f64 v[6:7], v[12:13], v[6:7]
	v_fmac_f64_e32 v[8:9], v[12:13], v[4:5]
	v_fma_f64 v[6:7], v[4:5], v[14:15], -v[6:7]
	v_mul_f64 v[4:5], v[8:9], s[4:5]
	v_mul_f64 v[6:7], v[6:7], s[4:5]
	global_store_dwordx4 v[16:17], v[4:7], off
	global_load_dwordx4 v[4:7], v202, s[8:9] offset:320
	ds_read_b128 v[8:11], v2 offset:320
	ds_read_b128 v[12:15], v2 offset:400
	v_mad_u64_u32 v[16:17], s[6:7], s0, v3, v[16:17]
	v_add_u32_e32 v17, s2, v17
	;; [unrolled: 24-line block ×3, first 2 shown]
	s_waitcnt vmcnt(0) lgkmcnt(1)
	v_mul_f64 v[18:19], v[10:11], v[6:7]
	v_mul_f64 v[6:7], v[8:9], v[6:7]
	v_fmac_f64_e32 v[18:19], v[8:9], v[4:5]
	v_fma_f64 v[6:7], v[4:5], v[10:11], -v[6:7]
	v_mul_f64 v[4:5], v[18:19], s[4:5]
	v_mul_f64 v[6:7], v[6:7], s[4:5]
	global_store_dwordx4 v[16:17], v[4:7], off
	global_load_dwordx4 v[4:7], v202, s[8:9] offset:560
	v_mad_u64_u32 v[16:17], s[6:7], s0, v3, v[16:17]
	v_add_u32_e32 v17, s2, v17
	v_mad_u64_u32 v[18:19], s[6:7], s0, v21, 0
	v_mov_b32_e32 v20, v19
	v_mad_u64_u32 v[20:21], s[6:7], s1, v21, v[20:21]
	v_mov_b32_e32 v19, v20
	v_lshl_add_u64 v[18:19], v[18:19], 4, v[0:1]
	s_waitcnt vmcnt(0) lgkmcnt(0)
	v_mul_f64 v[8:9], v[14:15], v[6:7]
	v_mul_f64 v[6:7], v[12:13], v[6:7]
	v_fmac_f64_e32 v[8:9], v[12:13], v[4:5]
	v_fma_f64 v[6:7], v[4:5], v[14:15], -v[6:7]
	v_mul_f64 v[4:5], v[8:9], s[4:5]
	v_mul_f64 v[6:7], v[6:7], s[4:5]
	global_store_dwordx4 v[16:17], v[4:7], off
	global_load_dwordx4 v[4:7], v202, s[8:9] offset:640
	ds_read_b128 v[8:11], v2 offset:640
	ds_read_b128 v[12:15], v2 offset:720
	s_waitcnt vmcnt(0) lgkmcnt(1)
	v_mul_f64 v[20:21], v[10:11], v[6:7]
	v_mul_f64 v[6:7], v[8:9], v[6:7]
	v_fmac_f64_e32 v[20:21], v[8:9], v[4:5]
	v_fma_f64 v[6:7], v[4:5], v[10:11], -v[6:7]
	v_mul_f64 v[4:5], v[20:21], s[4:5]
	v_mul_f64 v[6:7], v[6:7], s[4:5]
	global_store_dwordx4 v[18:19], v[4:7], off
	global_load_dwordx4 v[4:7], v202, s[8:9] offset:720
	v_mov_b32_e32 v8, 0xa0
	v_mad_u64_u32 v[16:17], s[6:7], s0, v8, v[16:17]
	v_add_u32_e32 v17, s3, v17
	s_waitcnt vmcnt(0) lgkmcnt(0)
	v_mul_f64 v[8:9], v[14:15], v[6:7]
	v_mul_f64 v[6:7], v[12:13], v[6:7]
	v_fmac_f64_e32 v[8:9], v[12:13], v[4:5]
	v_fma_f64 v[6:7], v[4:5], v[14:15], -v[6:7]
	v_mul_f64 v[4:5], v[8:9], s[4:5]
	v_mul_f64 v[6:7], v[6:7], s[4:5]
	global_store_dwordx4 v[16:17], v[4:7], off
	global_load_dwordx4 v[4:7], v202, s[8:9] offset:800
	ds_read_b128 v[8:11], v2 offset:800
	ds_read_b128 v[12:15], v2 offset:880
	v_mad_u64_u32 v[16:17], s[6:7], s0, v3, v[16:17]
	v_add_u32_e32 v17, s2, v17
	s_waitcnt vmcnt(0) lgkmcnt(1)
	v_mul_f64 v[18:19], v[10:11], v[6:7]
	v_mul_f64 v[6:7], v[8:9], v[6:7]
	v_fmac_f64_e32 v[18:19], v[8:9], v[4:5]
	v_fma_f64 v[6:7], v[4:5], v[10:11], -v[6:7]
	v_mul_f64 v[4:5], v[18:19], s[4:5]
	v_mul_f64 v[6:7], v[6:7], s[4:5]
	global_store_dwordx4 v[16:17], v[4:7], off
	global_load_dwordx4 v[4:7], v202, s[8:9] offset:880
	v_mad_u64_u32 v[16:17], s[6:7], s0, v3, v[16:17]
	v_add_u32_e32 v17, s2, v17
	s_waitcnt vmcnt(0) lgkmcnt(0)
	v_mul_f64 v[8:9], v[14:15], v[6:7]
	v_mul_f64 v[6:7], v[12:13], v[6:7]
	v_fmac_f64_e32 v[8:9], v[12:13], v[4:5]
	v_fma_f64 v[6:7], v[4:5], v[14:15], -v[6:7]
	v_mul_f64 v[4:5], v[8:9], s[4:5]
	v_mul_f64 v[6:7], v[6:7], s[4:5]
	global_store_dwordx4 v[16:17], v[4:7], off
	global_load_dwordx4 v[4:7], v202, s[8:9] offset:960
	ds_read_b128 v[8:11], v2 offset:960
	ds_read_b128 v[12:15], v2 offset:1040
	v_mad_u64_u32 v[16:17], s[6:7], s0, v3, v[16:17]
	v_add_u32_e32 v17, s2, v17
	s_waitcnt vmcnt(0) lgkmcnt(1)
	v_mul_f64 v[18:19], v[10:11], v[6:7]
	v_mul_f64 v[6:7], v[8:9], v[6:7]
	v_fmac_f64_e32 v[18:19], v[8:9], v[4:5]
	v_fma_f64 v[6:7], v[4:5], v[10:11], -v[6:7]
	v_mul_f64 v[4:5], v[18:19], s[4:5]
	v_mul_f64 v[6:7], v[6:7], s[4:5]
	global_store_dwordx4 v[16:17], v[4:7], off
	global_load_dwordx4 v[4:7], v202, s[8:9] offset:1040
	;; [unrolled: 24-line block ×3, first 2 shown]
	v_mad_u64_u32 v[8:9], s[6:7], s0, v3, v[16:17]
	v_add_u32_e32 v9, s2, v9
	v_or_b32_e32 v3, 0x50, v137
	s_waitcnt vmcnt(0) lgkmcnt(0)
	v_mul_f64 v[10:11], v[14:15], v[6:7]
	v_mul_f64 v[6:7], v[12:13], v[6:7]
	v_fmac_f64_e32 v[10:11], v[12:13], v[4:5]
	v_fma_f64 v[6:7], v[4:5], v[14:15], -v[6:7]
	v_mul_f64 v[4:5], v[10:11], s[4:5]
	v_mul_f64 v[6:7], v[6:7], s[4:5]
	global_store_dwordx4 v[8:9], v[4:7], off
	global_load_dwordx4 v[4:7], v202, s[8:9] offset:1280
	ds_read_b128 v[8:11], v2 offset:1280
	v_mad_u64_u32 v[12:13], s[2:3], s0, v3, 0
	v_mov_b32_e32 v2, v13
	v_mad_u64_u32 v[2:3], s[0:1], s1, v3, v[2:3]
	v_mov_b32_e32 v13, v2
	v_lshl_add_u64 v[0:1], v[12:13], 4, v[0:1]
	s_waitcnt vmcnt(0) lgkmcnt(0)
	v_mul_f64 v[2:3], v[10:11], v[6:7]
	v_mul_f64 v[6:7], v[8:9], v[6:7]
	v_fmac_f64_e32 v[2:3], v[8:9], v[4:5]
	v_fma_f64 v[4:5], v[4:5], v[10:11], -v[6:7]
	v_mul_f64 v[2:3], v[2:3], s[4:5]
	v_mul_f64 v[4:5], v[4:5], s[4:5]
	global_store_dwordx4 v[0:1], v[2:5], off
.LBB0_15:
	s_endpgm
	.section	.rodata,"a",@progbits
	.p2align	6, 0x0
	.amdhsa_kernel bluestein_single_back_len85_dim1_dp_op_CI_CI
		.amdhsa_group_segment_fixed_size 20400
		.amdhsa_private_segment_fixed_size 0
		.amdhsa_kernarg_size 104
		.amdhsa_user_sgpr_count 2
		.amdhsa_user_sgpr_dispatch_ptr 0
		.amdhsa_user_sgpr_queue_ptr 0
		.amdhsa_user_sgpr_kernarg_segment_ptr 1
		.amdhsa_user_sgpr_dispatch_id 0
		.amdhsa_user_sgpr_kernarg_preload_length 0
		.amdhsa_user_sgpr_kernarg_preload_offset 0
		.amdhsa_user_sgpr_private_segment_size 0
		.amdhsa_uses_dynamic_stack 0
		.amdhsa_enable_private_segment 0
		.amdhsa_system_sgpr_workgroup_id_x 1
		.amdhsa_system_sgpr_workgroup_id_y 0
		.amdhsa_system_sgpr_workgroup_id_z 0
		.amdhsa_system_sgpr_workgroup_info 0
		.amdhsa_system_vgpr_workitem_id 0
		.amdhsa_next_free_vgpr 304
		.amdhsa_next_free_sgpr 58
		.amdhsa_accum_offset 256
		.amdhsa_reserve_vcc 1
		.amdhsa_float_round_mode_32 0
		.amdhsa_float_round_mode_16_64 0
		.amdhsa_float_denorm_mode_32 3
		.amdhsa_float_denorm_mode_16_64 3
		.amdhsa_dx10_clamp 1
		.amdhsa_ieee_mode 1
		.amdhsa_fp16_overflow 0
		.amdhsa_tg_split 0
		.amdhsa_exception_fp_ieee_invalid_op 0
		.amdhsa_exception_fp_denorm_src 0
		.amdhsa_exception_fp_ieee_div_zero 0
		.amdhsa_exception_fp_ieee_overflow 0
		.amdhsa_exception_fp_ieee_underflow 0
		.amdhsa_exception_fp_ieee_inexact 0
		.amdhsa_exception_int_div_zero 0
	.end_amdhsa_kernel
	.text
.Lfunc_end0:
	.size	bluestein_single_back_len85_dim1_dp_op_CI_CI, .Lfunc_end0-bluestein_single_back_len85_dim1_dp_op_CI_CI
                                        ; -- End function
	.section	.AMDGPU.csdata,"",@progbits
; Kernel info:
; codeLenInByte = 18928
; NumSgprs: 64
; NumVgprs: 256
; NumAgprs: 48
; TotalNumVgprs: 304
; ScratchSize: 0
; MemoryBound: 0
; FloatMode: 240
; IeeeMode: 1
; LDSByteSize: 20400 bytes/workgroup (compile time only)
; SGPRBlocks: 7
; VGPRBlocks: 37
; NumSGPRsForWavesPerEU: 64
; NumVGPRsForWavesPerEU: 304
; AccumOffset: 256
; Occupancy: 1
; WaveLimiterHint : 1
; COMPUTE_PGM_RSRC2:SCRATCH_EN: 0
; COMPUTE_PGM_RSRC2:USER_SGPR: 2
; COMPUTE_PGM_RSRC2:TRAP_HANDLER: 0
; COMPUTE_PGM_RSRC2:TGID_X_EN: 1
; COMPUTE_PGM_RSRC2:TGID_Y_EN: 0
; COMPUTE_PGM_RSRC2:TGID_Z_EN: 0
; COMPUTE_PGM_RSRC2:TIDIG_COMP_CNT: 0
; COMPUTE_PGM_RSRC3_GFX90A:ACCUM_OFFSET: 63
; COMPUTE_PGM_RSRC3_GFX90A:TG_SPLIT: 0
	.text
	.p2alignl 6, 3212836864
	.fill 256, 4, 3212836864
	.type	__hip_cuid_a77fa005783f0043,@object ; @__hip_cuid_a77fa005783f0043
	.section	.bss,"aw",@nobits
	.globl	__hip_cuid_a77fa005783f0043
__hip_cuid_a77fa005783f0043:
	.byte	0                               ; 0x0
	.size	__hip_cuid_a77fa005783f0043, 1

	.ident	"AMD clang version 19.0.0git (https://github.com/RadeonOpenCompute/llvm-project roc-6.4.0 25133 c7fe45cf4b819c5991fe208aaa96edf142730f1d)"
	.section	".note.GNU-stack","",@progbits
	.addrsig
	.addrsig_sym __hip_cuid_a77fa005783f0043
	.amdgpu_metadata
---
amdhsa.kernels:
  - .agpr_count:     48
    .args:
      - .actual_access:  read_only
        .address_space:  global
        .offset:         0
        .size:           8
        .value_kind:     global_buffer
      - .actual_access:  read_only
        .address_space:  global
        .offset:         8
        .size:           8
        .value_kind:     global_buffer
      - .actual_access:  read_only
        .address_space:  global
        .offset:         16
        .size:           8
        .value_kind:     global_buffer
      - .actual_access:  read_only
        .address_space:  global
        .offset:         24
        .size:           8
        .value_kind:     global_buffer
      - .actual_access:  read_only
        .address_space:  global
        .offset:         32
        .size:           8
        .value_kind:     global_buffer
      - .offset:         40
        .size:           8
        .value_kind:     by_value
      - .address_space:  global
        .offset:         48
        .size:           8
        .value_kind:     global_buffer
      - .address_space:  global
        .offset:         56
        .size:           8
        .value_kind:     global_buffer
      - .address_space:  global
        .offset:         64
        .size:           8
        .value_kind:     global_buffer
      - .address_space:  global
        .offset:         72
        .size:           8
        .value_kind:     global_buffer
      - .offset:         80
        .size:           4
        .value_kind:     by_value
      - .address_space:  global
        .offset:         88
        .size:           8
        .value_kind:     global_buffer
      - .address_space:  global
        .offset:         96
        .size:           8
        .value_kind:     global_buffer
    .group_segment_fixed_size: 20400
    .kernarg_segment_align: 8
    .kernarg_segment_size: 104
    .language:       OpenCL C
    .language_version:
      - 2
      - 0
    .max_flat_workgroup_size: 255
    .name:           bluestein_single_back_len85_dim1_dp_op_CI_CI
    .private_segment_fixed_size: 0
    .sgpr_count:     64
    .sgpr_spill_count: 0
    .symbol:         bluestein_single_back_len85_dim1_dp_op_CI_CI.kd
    .uniform_work_group_size: 1
    .uses_dynamic_stack: false
    .vgpr_count:     304
    .vgpr_spill_count: 0
    .wavefront_size: 64
amdhsa.target:   amdgcn-amd-amdhsa--gfx950
amdhsa.version:
  - 1
  - 2
...

	.end_amdgpu_metadata
